;; amdgpu-corpus repo=ROCm/rocFFT kind=compiled arch=gfx1030 opt=O3
	.text
	.amdgcn_target "amdgcn-amd-amdhsa--gfx1030"
	.amdhsa_code_object_version 6
	.protected	fft_rtc_back_len3750_factors_3_5_5_10_5_wgs_125_tpt_125_halfLds_dp_op_CI_CI_unitstride_sbrr_C2R_dirReg ; -- Begin function fft_rtc_back_len3750_factors_3_5_5_10_5_wgs_125_tpt_125_halfLds_dp_op_CI_CI_unitstride_sbrr_C2R_dirReg
	.globl	fft_rtc_back_len3750_factors_3_5_5_10_5_wgs_125_tpt_125_halfLds_dp_op_CI_CI_unitstride_sbrr_C2R_dirReg
	.p2align	8
	.type	fft_rtc_back_len3750_factors_3_5_5_10_5_wgs_125_tpt_125_halfLds_dp_op_CI_CI_unitstride_sbrr_C2R_dirReg,@function
fft_rtc_back_len3750_factors_3_5_5_10_5_wgs_125_tpt_125_halfLds_dp_op_CI_CI_unitstride_sbrr_C2R_dirReg: ; @fft_rtc_back_len3750_factors_3_5_5_10_5_wgs_125_tpt_125_halfLds_dp_op_CI_CI_unitstride_sbrr_C2R_dirReg
; %bb.0:
	s_clause 0x2
	s_load_dwordx4 s[12:15], s[4:5], 0x0
	s_load_dwordx4 s[8:11], s[4:5], 0x58
	;; [unrolled: 1-line block ×3, first 2 shown]
	v_mul_u32_u24_e32 v1, 0x20d, v0
	v_mov_b32_e32 v3, 0
	v_add_nc_u32_sdwa v5, s6, v1 dst_sel:DWORD dst_unused:UNUSED_PAD src0_sel:DWORD src1_sel:WORD_1
	v_mov_b32_e32 v1, 0
	v_mov_b32_e32 v6, v3
	v_mov_b32_e32 v2, 0
	s_waitcnt lgkmcnt(0)
	v_cmp_lt_u64_e64 s0, s[14:15], 2
	s_and_b32 vcc_lo, exec_lo, s0
	s_cbranch_vccnz .LBB0_8
; %bb.1:
	s_load_dwordx2 s[0:1], s[4:5], 0x10
	v_mov_b32_e32 v1, 0
	v_mov_b32_e32 v2, 0
	s_add_u32 s2, s18, 8
	s_addc_u32 s3, s19, 0
	s_add_u32 s6, s16, 8
	s_addc_u32 s7, s17, 0
	v_mov_b32_e32 v99, v2
	v_mov_b32_e32 v98, v1
	s_mov_b64 s[22:23], 1
	s_waitcnt lgkmcnt(0)
	s_add_u32 s20, s0, 8
	s_addc_u32 s21, s1, 0
.LBB0_2:                                ; =>This Inner Loop Header: Depth=1
	s_load_dwordx2 s[24:25], s[20:21], 0x0
                                        ; implicit-def: $vgpr100_vgpr101
	s_mov_b32 s0, exec_lo
	s_waitcnt lgkmcnt(0)
	v_or_b32_e32 v4, s25, v6
	v_cmpx_ne_u64_e32 0, v[3:4]
	s_xor_b32 s1, exec_lo, s0
	s_cbranch_execz .LBB0_4
; %bb.3:                                ;   in Loop: Header=BB0_2 Depth=1
	v_cvt_f32_u32_e32 v4, s24
	v_cvt_f32_u32_e32 v7, s25
	s_sub_u32 s0, 0, s24
	s_subb_u32 s26, 0, s25
	v_fmac_f32_e32 v4, 0x4f800000, v7
	v_rcp_f32_e32 v4, v4
	v_mul_f32_e32 v4, 0x5f7ffffc, v4
	v_mul_f32_e32 v7, 0x2f800000, v4
	v_trunc_f32_e32 v7, v7
	v_fmac_f32_e32 v4, 0xcf800000, v7
	v_cvt_u32_f32_e32 v7, v7
	v_cvt_u32_f32_e32 v4, v4
	v_mul_lo_u32 v8, s0, v7
	v_mul_hi_u32 v9, s0, v4
	v_mul_lo_u32 v10, s26, v4
	v_add_nc_u32_e32 v8, v9, v8
	v_mul_lo_u32 v9, s0, v4
	v_add_nc_u32_e32 v8, v8, v10
	v_mul_hi_u32 v10, v4, v9
	v_mul_lo_u32 v11, v4, v8
	v_mul_hi_u32 v12, v4, v8
	v_mul_hi_u32 v13, v7, v9
	v_mul_lo_u32 v9, v7, v9
	v_mul_hi_u32 v14, v7, v8
	v_mul_lo_u32 v8, v7, v8
	v_add_co_u32 v10, vcc_lo, v10, v11
	v_add_co_ci_u32_e32 v11, vcc_lo, 0, v12, vcc_lo
	v_add_co_u32 v9, vcc_lo, v10, v9
	v_add_co_ci_u32_e32 v9, vcc_lo, v11, v13, vcc_lo
	v_add_co_ci_u32_e32 v10, vcc_lo, 0, v14, vcc_lo
	v_add_co_u32 v8, vcc_lo, v9, v8
	v_add_co_ci_u32_e32 v9, vcc_lo, 0, v10, vcc_lo
	v_add_co_u32 v4, vcc_lo, v4, v8
	v_add_co_ci_u32_e32 v7, vcc_lo, v7, v9, vcc_lo
	v_mul_hi_u32 v8, s0, v4
	v_mul_lo_u32 v10, s26, v4
	v_mul_lo_u32 v9, s0, v7
	v_add_nc_u32_e32 v8, v8, v9
	v_mul_lo_u32 v9, s0, v4
	v_add_nc_u32_e32 v8, v8, v10
	v_mul_hi_u32 v10, v4, v9
	v_mul_lo_u32 v11, v4, v8
	v_mul_hi_u32 v12, v4, v8
	v_mul_hi_u32 v13, v7, v9
	v_mul_lo_u32 v9, v7, v9
	v_mul_hi_u32 v14, v7, v8
	v_mul_lo_u32 v8, v7, v8
	v_add_co_u32 v10, vcc_lo, v10, v11
	v_add_co_ci_u32_e32 v11, vcc_lo, 0, v12, vcc_lo
	v_add_co_u32 v9, vcc_lo, v10, v9
	v_add_co_ci_u32_e32 v9, vcc_lo, v11, v13, vcc_lo
	v_add_co_ci_u32_e32 v10, vcc_lo, 0, v14, vcc_lo
	v_add_co_u32 v8, vcc_lo, v9, v8
	v_add_co_ci_u32_e32 v9, vcc_lo, 0, v10, vcc_lo
	v_add_co_u32 v4, vcc_lo, v4, v8
	v_add_co_ci_u32_e32 v11, vcc_lo, v7, v9, vcc_lo
	v_mul_hi_u32 v13, v5, v4
	v_mad_u64_u32 v[9:10], null, v6, v4, 0
	v_mad_u64_u32 v[7:8], null, v5, v11, 0
	;; [unrolled: 1-line block ×3, first 2 shown]
	v_add_co_u32 v4, vcc_lo, v13, v7
	v_add_co_ci_u32_e32 v7, vcc_lo, 0, v8, vcc_lo
	v_add_co_u32 v4, vcc_lo, v4, v9
	v_add_co_ci_u32_e32 v4, vcc_lo, v7, v10, vcc_lo
	v_add_co_ci_u32_e32 v7, vcc_lo, 0, v12, vcc_lo
	v_add_co_u32 v4, vcc_lo, v4, v11
	v_add_co_ci_u32_e32 v9, vcc_lo, 0, v7, vcc_lo
	v_mul_lo_u32 v10, s25, v4
	v_mad_u64_u32 v[7:8], null, s24, v4, 0
	v_mul_lo_u32 v11, s24, v9
	v_sub_co_u32 v7, vcc_lo, v5, v7
	v_add3_u32 v8, v8, v11, v10
	v_sub_nc_u32_e32 v10, v6, v8
	v_subrev_co_ci_u32_e64 v10, s0, s25, v10, vcc_lo
	v_add_co_u32 v11, s0, v4, 2
	v_add_co_ci_u32_e64 v12, s0, 0, v9, s0
	v_sub_co_u32 v13, s0, v7, s24
	v_sub_co_ci_u32_e32 v8, vcc_lo, v6, v8, vcc_lo
	v_subrev_co_ci_u32_e64 v10, s0, 0, v10, s0
	v_cmp_le_u32_e32 vcc_lo, s24, v13
	v_cmp_eq_u32_e64 s0, s25, v8
	v_cndmask_b32_e64 v13, 0, -1, vcc_lo
	v_cmp_le_u32_e32 vcc_lo, s25, v10
	v_cndmask_b32_e64 v14, 0, -1, vcc_lo
	v_cmp_le_u32_e32 vcc_lo, s24, v7
	;; [unrolled: 2-line block ×3, first 2 shown]
	v_cndmask_b32_e64 v15, 0, -1, vcc_lo
	v_cmp_eq_u32_e32 vcc_lo, s25, v10
	v_cndmask_b32_e64 v7, v15, v7, s0
	v_cndmask_b32_e32 v10, v14, v13, vcc_lo
	v_add_co_u32 v13, vcc_lo, v4, 1
	v_add_co_ci_u32_e32 v14, vcc_lo, 0, v9, vcc_lo
	v_cmp_ne_u32_e32 vcc_lo, 0, v10
	v_cndmask_b32_e32 v8, v14, v12, vcc_lo
	v_cndmask_b32_e32 v10, v13, v11, vcc_lo
	v_cmp_ne_u32_e32 vcc_lo, 0, v7
	v_cndmask_b32_e32 v101, v9, v8, vcc_lo
	v_cndmask_b32_e32 v100, v4, v10, vcc_lo
.LBB0_4:                                ;   in Loop: Header=BB0_2 Depth=1
	s_andn2_saveexec_b32 s0, s1
	s_cbranch_execz .LBB0_6
; %bb.5:                                ;   in Loop: Header=BB0_2 Depth=1
	v_cvt_f32_u32_e32 v4, s24
	s_sub_i32 s1, 0, s24
	v_mov_b32_e32 v101, v3
	v_rcp_iflag_f32_e32 v4, v4
	v_mul_f32_e32 v4, 0x4f7ffffe, v4
	v_cvt_u32_f32_e32 v4, v4
	v_mul_lo_u32 v7, s1, v4
	v_mul_hi_u32 v7, v4, v7
	v_add_nc_u32_e32 v4, v4, v7
	v_mul_hi_u32 v4, v5, v4
	v_mul_lo_u32 v7, v4, s24
	v_add_nc_u32_e32 v8, 1, v4
	v_sub_nc_u32_e32 v7, v5, v7
	v_subrev_nc_u32_e32 v9, s24, v7
	v_cmp_le_u32_e32 vcc_lo, s24, v7
	v_cndmask_b32_e32 v7, v7, v9, vcc_lo
	v_cndmask_b32_e32 v4, v4, v8, vcc_lo
	v_cmp_le_u32_e32 vcc_lo, s24, v7
	v_add_nc_u32_e32 v8, 1, v4
	v_cndmask_b32_e32 v100, v4, v8, vcc_lo
.LBB0_6:                                ;   in Loop: Header=BB0_2 Depth=1
	s_or_b32 exec_lo, exec_lo, s0
	v_mul_lo_u32 v4, v101, s24
	v_mul_lo_u32 v9, v100, s25
	s_load_dwordx2 s[0:1], s[6:7], 0x0
	v_mad_u64_u32 v[7:8], null, v100, s24, 0
	s_load_dwordx2 s[24:25], s[2:3], 0x0
	s_add_u32 s22, s22, 1
	s_addc_u32 s23, s23, 0
	s_add_u32 s2, s2, 8
	s_addc_u32 s3, s3, 0
	s_add_u32 s6, s6, 8
	v_add3_u32 v4, v8, v9, v4
	v_sub_co_u32 v5, vcc_lo, v5, v7
	s_addc_u32 s7, s7, 0
	s_add_u32 s20, s20, 8
	v_sub_co_ci_u32_e32 v4, vcc_lo, v6, v4, vcc_lo
	s_addc_u32 s21, s21, 0
	s_waitcnt lgkmcnt(0)
	v_mul_lo_u32 v6, s0, v4
	v_mul_lo_u32 v7, s1, v5
	v_mad_u64_u32 v[1:2], null, s0, v5, v[1:2]
	v_mul_lo_u32 v4, s24, v4
	v_mul_lo_u32 v8, s25, v5
	v_mad_u64_u32 v[98:99], null, s24, v5, v[98:99]
	v_cmp_ge_u64_e64 s0, s[22:23], s[14:15]
	v_add3_u32 v2, v7, v2, v6
	v_add3_u32 v99, v8, v99, v4
	s_and_b32 vcc_lo, exec_lo, s0
	s_cbranch_vccnz .LBB0_9
; %bb.7:                                ;   in Loop: Header=BB0_2 Depth=1
	v_mov_b32_e32 v5, v100
	v_mov_b32_e32 v6, v101
	s_branch .LBB0_2
.LBB0_8:
	v_mov_b32_e32 v99, v2
	v_mov_b32_e32 v101, v6
	;; [unrolled: 1-line block ×4, first 2 shown]
.LBB0_9:
	s_load_dwordx2 s[0:1], s[4:5], 0x28
	v_mul_hi_u32 v3, 0x20c49bb, v0
	s_lshl_b64 s[4:5], s[14:15], 3
                                        ; implicit-def: $vgpr96
	s_add_u32 s2, s18, s4
	s_addc_u32 s3, s19, s5
	s_waitcnt lgkmcnt(0)
	v_cmp_gt_u64_e32 vcc_lo, s[0:1], v[100:101]
	v_cmp_le_u64_e64 s0, s[0:1], v[100:101]
	s_and_saveexec_b32 s1, s0
	s_xor_b32 s0, exec_lo, s1
; %bb.10:
	v_mul_u32_u24_e32 v1, 0x7d, v3
                                        ; implicit-def: $vgpr3
	v_sub_nc_u32_e32 v96, v0, v1
                                        ; implicit-def: $vgpr0
                                        ; implicit-def: $vgpr1_vgpr2
; %bb.11:
	s_or_saveexec_b32 s1, s0
	s_load_dwordx2 s[2:3], s[2:3], 0x0
	s_xor_b32 exec_lo, exec_lo, s1
	s_cbranch_execz .LBB0_15
; %bb.12:
	s_add_u32 s4, s16, s4
	s_addc_u32 s5, s17, s5
	v_lshlrev_b64 v[1:2], 4, v[1:2]
	s_load_dwordx2 s[4:5], s[4:5], 0x0
	s_waitcnt lgkmcnt(0)
	v_mul_lo_u32 v6, s5, v100
	v_mul_lo_u32 v7, s4, v101
	v_mad_u64_u32 v[4:5], null, s4, v100, 0
	v_add3_u32 v5, v5, v7, v6
	v_mul_u32_u24_e32 v6, 0x7d, v3
	v_lshlrev_b64 v[3:4], 4, v[4:5]
	v_sub_nc_u32_e32 v96, v0, v6
	v_lshlrev_b32_e32 v97, 4, v96
	v_add_co_u32 v0, s0, s8, v3
	v_add_co_ci_u32_e64 v3, s0, s9, v4, s0
	v_add_co_u32 v0, s0, v0, v1
	v_add_co_ci_u32_e64 v1, s0, v3, v2, s0
	;; [unrolled: 2-line block ×3, first 2 shown]
	s_clause 0x1
	global_load_dwordx4 v[2:5], v[66:67], off
	global_load_dwordx4 v[6:9], v[66:67], off offset:2000
	v_add_co_u32 v10, s0, 0x800, v66
	v_add_co_ci_u32_e64 v11, s0, 0, v67, s0
	v_add_co_u32 v14, s0, 0x1000, v66
	v_add_co_ci_u32_e64 v15, s0, 0, v67, s0
	;; [unrolled: 2-line block ×28, first 2 shown]
	s_clause 0x1b
	global_load_dwordx4 v[10:13], v[10:11], off offset:1952
	global_load_dwordx4 v[14:17], v[14:15], off offset:1904
	;; [unrolled: 1-line block ×28, first 2 shown]
	v_add_nc_u32_e32 v94, 0, v97
	v_cmp_eq_u32_e64 s0, 0x7c, v96
	s_waitcnt vmcnt(29)
	ds_write_b128 v94, v[2:5]
	s_waitcnt vmcnt(28)
	ds_write_b128 v94, v[6:9] offset:2000
	s_waitcnt vmcnt(27)
	ds_write_b128 v94, v[10:13] offset:4000
	;; [unrolled: 2-line block ×29, first 2 shown]
	s_and_saveexec_b32 s4, s0
	s_cbranch_execz .LBB0_14
; %bb.13:
	v_add_co_u32 v0, s0, 0xe800, v0
	v_add_co_ci_u32_e64 v1, s0, 0, v1, s0
	v_mov_b32_e32 v4, 0
	v_mov_b32_e32 v96, 0x7c
	global_load_dwordx4 v[0:3], v[0:1], off offset:608
	s_waitcnt vmcnt(0)
	ds_write_b128 v4, v[0:3] offset:60000
.LBB0_14:
	s_or_b32 exec_lo, exec_lo, s4
.LBB0_15:
	s_or_b32 exec_lo, exec_lo, s1
	v_lshlrev_b32_e32 v0, 4, v96
	s_waitcnt lgkmcnt(0)
	s_barrier
	buffer_gl0_inv
	s_add_u32 s1, s12, 0xea30
	v_add_nc_u32_e32 v152, 0, v0
	v_sub_nc_u32_e32 v10, 0, v0
	s_addc_u32 s4, s13, 0
	s_mov_b32 s5, exec_lo
                                        ; implicit-def: $vgpr4_vgpr5
	ds_read_b64 v[6:7], v152
	ds_read_b64 v[8:9], v10 offset:60000
	s_waitcnt lgkmcnt(0)
	v_add_f64 v[0:1], v[6:7], v[8:9]
	v_add_f64 v[2:3], v[6:7], -v[8:9]
	v_cmpx_ne_u32_e32 0, v96
	s_xor_b32 s5, exec_lo, s5
	s_cbranch_execz .LBB0_17
; %bb.16:
	v_mov_b32_e32 v97, 0
	v_add_f64 v[13:14], v[6:7], v[8:9]
	v_add_f64 v[15:16], v[6:7], -v[8:9]
	v_lshlrev_b64 v[0:1], 4, v[96:97]
	v_add_co_u32 v0, s0, s1, v0
	v_add_co_ci_u32_e64 v1, s0, s4, v1, s0
	global_load_dwordx4 v[2:5], v[0:1], off
	ds_read_b64 v[0:1], v10 offset:60008
	ds_read_b64 v[11:12], v152 offset:8
	s_waitcnt lgkmcnt(0)
	v_add_f64 v[6:7], v[0:1], v[11:12]
	v_add_f64 v[0:1], v[11:12], -v[0:1]
	s_waitcnt vmcnt(0)
	v_fma_f64 v[8:9], v[15:16], v[4:5], v[13:14]
	v_fma_f64 v[11:12], -v[15:16], v[4:5], v[13:14]
	v_fma_f64 v[13:14], v[6:7], v[4:5], -v[0:1]
	v_fma_f64 v[4:5], v[6:7], v[4:5], v[0:1]
	v_fma_f64 v[0:1], -v[6:7], v[2:3], v[8:9]
	v_fma_f64 v[6:7], v[6:7], v[2:3], v[11:12]
	v_fma_f64 v[8:9], v[15:16], v[2:3], v[13:14]
	;; [unrolled: 1-line block ×3, first 2 shown]
	v_mov_b32_e32 v4, v96
	v_mov_b32_e32 v5, v97
	ds_write_b128 v10, v[6:9] offset:60000
.LBB0_17:
	s_andn2_saveexec_b32 s0, s5
	s_cbranch_execz .LBB0_19
; %bb.18:
	v_mov_b32_e32 v8, 0
	ds_read_b128 v[4:7], v8 offset:30000
	s_waitcnt lgkmcnt(0)
	v_add_f64 v[11:12], v[4:5], v[4:5]
	v_mul_f64 v[13:14], v[6:7], -2.0
	v_mov_b32_e32 v4, 0
	v_mov_b32_e32 v5, 0
	ds_write_b128 v8, v[11:14] offset:30000
.LBB0_19:
	s_or_b32 exec_lo, exec_lo, s0
	v_lshlrev_b64 v[4:5], 4, v[4:5]
	ds_write_b128 v152, v[0:3]
	s_mov_b32 s5, 0x3febb67a
	s_mov_b32 s6, 0x134454ff
	;; [unrolled: 1-line block ×4, first 2 shown]
	v_add_co_u32 v4, s0, s1, v4
	v_add_co_ci_u32_e64 v5, s0, s4, v5, s0
	s_mov_b32 s8, s6
	v_add_co_u32 v11, s0, 0x800, v4
	global_load_dwordx4 v[6:9], v[4:5], off offset:2000
	v_add_co_ci_u32_e64 v12, s0, 0, v5, s0
	v_add_co_u32 v15, s0, 0x1000, v4
	v_add_co_ci_u32_e64 v16, s0, 0, v5, s0
	global_load_dwordx4 v[11:14], v[11:12], off offset:1952
	v_add_co_u32 v23, s0, 0x1800, v4
	global_load_dwordx4 v[15:18], v[15:16], off offset:1904
	v_add_co_ci_u32_e64 v24, s0, 0, v5, s0
	ds_read_b128 v[0:3], v152 offset:2000
	ds_read_b128 v[19:22], v10 offset:58000
	s_mov_b32 s14, 0x4755a5e
	s_mov_b32 s15, 0xbfe2cf23
	global_load_dwordx4 v[23:26], v[23:24], off offset:1856
	s_mov_b32 s17, 0x3fe2cf23
	s_mov_b32 s16, s14
	;; [unrolled: 1-line block ×7, first 2 shown]
	s_waitcnt lgkmcnt(0)
	v_add_f64 v[27:28], v[0:1], v[19:20]
	v_add_f64 v[29:30], v[21:22], v[2:3]
	v_add_f64 v[31:32], v[0:1], -v[19:20]
	v_add_f64 v[0:1], v[2:3], -v[21:22]
	s_waitcnt vmcnt(3)
	v_fma_f64 v[2:3], v[31:32], v[8:9], v[27:28]
	v_fma_f64 v[19:20], v[29:30], v[8:9], v[0:1]
	v_fma_f64 v[21:22], -v[31:32], v[8:9], v[27:28]
	v_fma_f64 v[8:9], v[29:30], v[8:9], -v[0:1]
	v_add_co_u32 v27, s0, 0x2000, v4
	v_add_co_ci_u32_e64 v28, s0, 0, v5, s0
	v_fma_f64 v[0:1], -v[29:30], v[6:7], v[2:3]
	v_fma_f64 v[2:3], v[31:32], v[6:7], v[19:20]
	v_fma_f64 v[19:20], v[29:30], v[6:7], v[21:22]
	;; [unrolled: 1-line block ×3, first 2 shown]
	ds_write_b128 v152, v[0:3] offset:2000
	ds_write_b128 v10, v[19:22] offset:58000
	ds_read_b128 v[0:3], v152 offset:4000
	ds_read_b128 v[6:9], v10 offset:56000
	global_load_dwordx4 v[19:22], v[27:28], off offset:1808
	s_waitcnt lgkmcnt(0)
	v_add_f64 v[27:28], v[0:1], v[6:7]
	v_add_f64 v[29:30], v[8:9], v[2:3]
	v_add_f64 v[31:32], v[0:1], -v[6:7]
	v_add_f64 v[0:1], v[2:3], -v[8:9]
	s_waitcnt vmcnt(3)
	v_fma_f64 v[2:3], v[31:32], v[13:14], v[27:28]
	v_fma_f64 v[6:7], v[29:30], v[13:14], v[0:1]
	v_fma_f64 v[8:9], -v[31:32], v[13:14], v[27:28]
	v_fma_f64 v[13:14], v[29:30], v[13:14], -v[0:1]
	v_fma_f64 v[0:1], -v[29:30], v[11:12], v[2:3]
	v_fma_f64 v[2:3], v[31:32], v[11:12], v[6:7]
	v_fma_f64 v[6:7], v[29:30], v[11:12], v[8:9]
	v_fma_f64 v[8:9], v[31:32], v[11:12], v[13:14]
	v_add_co_u32 v11, s0, 0x2800, v4
	v_add_co_ci_u32_e64 v12, s0, 0, v5, s0
	ds_write_b128 v152, v[0:3] offset:4000
	ds_write_b128 v10, v[6:9] offset:56000
	ds_read_b128 v[0:3], v152 offset:6000
	ds_read_b128 v[6:9], v10 offset:54000
	global_load_dwordx4 v[11:14], v[11:12], off offset:1760
	s_waitcnt lgkmcnt(0)
	v_add_f64 v[27:28], v[0:1], v[6:7]
	v_add_f64 v[29:30], v[8:9], v[2:3]
	v_add_f64 v[31:32], v[0:1], -v[6:7]
	v_add_f64 v[0:1], v[2:3], -v[8:9]
	s_waitcnt vmcnt(3)
	v_fma_f64 v[2:3], v[31:32], v[17:18], v[27:28]
	v_fma_f64 v[6:7], v[29:30], v[17:18], v[0:1]
	v_fma_f64 v[8:9], -v[31:32], v[17:18], v[27:28]
	v_fma_f64 v[17:18], v[29:30], v[17:18], -v[0:1]
	v_fma_f64 v[0:1], -v[29:30], v[15:16], v[2:3]
	v_fma_f64 v[2:3], v[31:32], v[15:16], v[6:7]
	v_fma_f64 v[6:7], v[29:30], v[15:16], v[8:9]
	v_fma_f64 v[8:9], v[31:32], v[15:16], v[17:18]
	v_add_co_u32 v15, s0, 0x3000, v4
	v_add_co_ci_u32_e64 v16, s0, 0, v5, s0
	;; [unrolled: 21-line block ×9, first 2 shown]
	s_mov_b32 s0, 0xe8584caa
	s_mov_b32 s1, 0xbfebb67a
	;; [unrolled: 1-line block ×3, first 2 shown]
	ds_write_b128 v152, v[0:3] offset:20000
	ds_write_b128 v10, v[6:9] offset:40000
	ds_read_b128 v[0:3], v152 offset:22000
	ds_read_b128 v[4:7], v10 offset:38000
	global_load_dwordx4 v[11:14], v[11:12], off offset:1376
	s_waitcnt lgkmcnt(0)
	v_add_f64 v[8:9], v[0:1], v[4:5]
	v_add_f64 v[27:28], v[6:7], v[2:3]
	v_add_f64 v[29:30], v[0:1], -v[4:5]
	v_add_f64 v[0:1], v[2:3], -v[6:7]
	s_waitcnt vmcnt(3)
	v_fma_f64 v[2:3], v[29:30], v[17:18], v[8:9]
	v_fma_f64 v[4:5], v[27:28], v[17:18], v[0:1]
	v_fma_f64 v[6:7], -v[29:30], v[17:18], v[8:9]
	v_fma_f64 v[8:9], v[27:28], v[17:18], -v[0:1]
	v_fma_f64 v[0:1], -v[27:28], v[15:16], v[2:3]
	v_fma_f64 v[2:3], v[29:30], v[15:16], v[4:5]
	v_fma_f64 v[4:5], v[27:28], v[15:16], v[6:7]
	v_fma_f64 v[6:7], v[29:30], v[15:16], v[8:9]
	ds_write_b128 v152, v[0:3] offset:22000
	ds_write_b128 v10, v[4:7] offset:38000
	ds_read_b128 v[0:3], v152 offset:24000
	ds_read_b128 v[4:7], v10 offset:36000
	s_waitcnt lgkmcnt(0)
	v_add_f64 v[8:9], v[0:1], v[4:5]
	v_add_f64 v[15:16], v[6:7], v[2:3]
	v_add_f64 v[17:18], v[0:1], -v[4:5]
	v_add_f64 v[0:1], v[2:3], -v[6:7]
	s_waitcnt vmcnt(2)
	v_fma_f64 v[2:3], v[17:18], v[25:26], v[8:9]
	v_fma_f64 v[4:5], v[15:16], v[25:26], v[0:1]
	v_fma_f64 v[6:7], -v[17:18], v[25:26], v[8:9]
	v_fma_f64 v[8:9], v[15:16], v[25:26], -v[0:1]
	v_fma_f64 v[0:1], -v[15:16], v[23:24], v[2:3]
	v_fma_f64 v[2:3], v[17:18], v[23:24], v[4:5]
	v_fma_f64 v[4:5], v[15:16], v[23:24], v[6:7]
	v_fma_f64 v[6:7], v[17:18], v[23:24], v[8:9]
	ds_write_b128 v152, v[0:3] offset:24000
	ds_write_b128 v10, v[4:7] offset:36000
	ds_read_b128 v[0:3], v152 offset:26000
	ds_read_b128 v[4:7], v10 offset:34000
	;; [unrolled: 18-line block ×3, first 2 shown]
	s_waitcnt lgkmcnt(0)
	v_add_f64 v[8:9], v[0:1], v[4:5]
	v_add_f64 v[15:16], v[6:7], v[2:3]
	v_add_f64 v[17:18], v[0:1], -v[4:5]
	v_add_f64 v[0:1], v[2:3], -v[6:7]
	s_waitcnt vmcnt(0)
	v_fma_f64 v[2:3], v[17:18], v[13:14], v[8:9]
	v_fma_f64 v[4:5], v[15:16], v[13:14], v[0:1]
	v_fma_f64 v[6:7], -v[17:18], v[13:14], v[8:9]
	v_fma_f64 v[8:9], v[15:16], v[13:14], -v[0:1]
	v_fma_f64 v[0:1], -v[15:16], v[11:12], v[2:3]
	v_fma_f64 v[2:3], v[17:18], v[11:12], v[4:5]
	v_fma_f64 v[4:5], v[15:16], v[11:12], v[6:7]
	;; [unrolled: 1-line block ×3, first 2 shown]
	ds_write_b128 v152, v[0:3] offset:28000
	ds_write_b128 v10, v[4:7] offset:32000
	s_waitcnt lgkmcnt(0)
	s_barrier
	buffer_gl0_inv
	s_barrier
	buffer_gl0_inv
	ds_read_b128 v[64:67], v152
	ds_read_b128 v[0:3], v152 offset:20000
	ds_read_b128 v[4:7], v152 offset:40000
	;; [unrolled: 1-line block ×26, first 2 shown]
	s_waitcnt lgkmcnt(25)
	v_add_f64 v[106:107], v[64:65], v[0:1]
	v_add_f64 v[108:109], v[66:67], v[2:3]
	s_waitcnt lgkmcnt(24)
	v_add_f64 v[126:127], v[0:1], v[4:5]
	v_add_f64 v[78:79], v[0:1], -v[4:5]
	s_waitcnt lgkmcnt(22)
	v_add_f64 v[0:1], v[68:69], v[16:17]
	s_waitcnt lgkmcnt(20)
	v_add_f64 v[118:119], v[60:61], v[20:21]
	;; [unrolled: 2-line block ×3, first 2 shown]
	v_add_f64 v[136:137], v[22:23], v[34:35]
	s_waitcnt lgkmcnt(16)
	v_add_f64 v[150:151], v[72:73], v[36:37]
	s_waitcnt lgkmcnt(13)
	v_add_f64 v[138:139], v[36:37], v[102:103]
	v_add_f64 v[140:141], v[38:39], v[104:105]
	;; [unrolled: 1-line block ×4, first 2 shown]
	v_add_f64 v[76:77], v[2:3], -v[6:7]
	v_add_f64 v[128:129], v[2:3], v[6:7]
	v_add_f64 v[2:3], v[70:71], v[18:19]
	;; [unrolled: 1-line block ×4, first 2 shown]
	s_waitcnt lgkmcnt(12)
	v_add_f64 v[146:147], v[92:93], v[110:111]
	v_add_f64 v[148:149], v[94:95], v[112:113]
	v_add_f64 v[82:83], v[16:17], -v[24:25]
	v_add_f64 v[80:81], v[18:19], -v[26:27]
	v_add_f64 v[16:17], v[106:107], v[4:5]
	s_waitcnt lgkmcnt(10)
	v_add_f64 v[4:5], v[12:13], v[114:115]
	v_add_f64 v[86:87], v[20:21], -v[32:33]
	v_add_f64 v[88:89], v[38:39], -v[104:105]
	v_add_f64 v[38:39], v[58:59], v[94:95]
	v_add_f64 v[18:19], v[108:109], v[6:7]
	;; [unrolled: 1-line block ×4, first 2 shown]
	s_waitcnt lgkmcnt(8)
	v_add_f64 v[163:164], v[8:9], v[122:123]
	v_add_f64 v[165:166], v[10:11], v[124:125]
	;; [unrolled: 1-line block ×4, first 2 shown]
	v_fma_f64 v[150:151], v[134:135], -0.5, v[60:61]
	v_fma_f64 v[135:136], v[136:137], -0.5, v[62:63]
	;; [unrolled: 1-line block ×4, first 2 shown]
	s_waitcnt lgkmcnt(2)
	v_add_f64 v[137:138], v[28:29], v[48:49]
	v_add_f64 v[139:140], v[30:31], v[50:51]
	v_fma_f64 v[130:131], v[130:131], -0.5, v[68:69]
	v_fma_f64 v[132:133], v[132:133], -0.5, v[70:71]
	ds_read_b128 v[68:71], v152 offset:58000
	ds_read_b128 v[60:63], v152 offset:38000
	v_add_f64 v[84:85], v[22:23], -v[34:35]
	v_add_f64 v[90:91], v[36:37], -v[102:103]
	v_add_f64 v[36:37], v[56:57], v[92:93]
	v_add_f64 v[22:23], v[2:3], v[26:27]
	;; [unrolled: 1-line block ×3, first 2 shown]
	v_add_f64 v[106:107], v[94:95], -v[112:113]
	v_add_f64 v[108:109], v[92:93], -v[110:111]
	v_add_f64 v[34:35], v[161:162], v[104:105]
	v_add_f64 v[118:119], v[114:115], v[142:143]
	v_add_f64 v[92:93], v[116:117], -v[144:145]
	v_add_f64 v[120:121], v[116:117], v[144:145]
	v_add_f64 v[94:95], v[114:115], -v[142:143]
	;; [unrolled: 2-line block ×4, first 2 shown]
	s_waitcnt lgkmcnt(3)
	v_add_f64 v[122:123], v[157:158], v[52:53]
	v_add_f64 v[124:125], v[159:160], v[54:55]
	v_fma_f64 v[126:127], v[126:127], -0.5, v[64:65]
	v_fma_f64 v[128:129], v[128:129], -0.5, v[66:67]
	ds_read_b128 v[64:67], v152 offset:18000
	v_fma_f64 v[146:147], v[146:147], -0.5, v[56:57]
	s_waitcnt lgkmcnt(3)
	v_add_f64 v[56:57], v[48:49], v[44:45]
	v_fma_f64 v[148:149], v[148:149], -0.5, v[58:59]
	v_add_f64 v[58:59], v[50:51], v[46:47]
	v_add_f64 v[0:1], v[4:5], v[142:143]
	;; [unrolled: 1-line block ×7, first 2 shown]
	v_add_f64 v[112:113], v[157:158], -v[52:53]
	v_add_f64 v[154:155], v[50:51], -v[46:47]
	;; [unrolled: 1-line block ×3, first 2 shown]
	v_add_f64 v[137:138], v[137:138], v[44:45]
	v_add_f64 v[139:140], v[139:140], v[46:47]
	s_waitcnt lgkmcnt(1)
	v_add_f64 v[44:45], v[60:61], v[68:69]
	v_add_f64 v[46:47], v[62:63], v[70:71]
	;; [unrolled: 1-line block ×3, first 2 shown]
	v_fma_f64 v[122:123], v[122:123], -0.5, v[40:41]
	v_fma_f64 v[124:125], v[124:125], -0.5, v[42:43]
	s_waitcnt lgkmcnt(0)
	v_add_f64 v[40:41], v[64:65], v[60:61]
	v_add_f64 v[42:43], v[66:67], v[62:63]
	v_and_b32_e32 v153, 0xff, v96
	v_add_f64 v[36:37], v[36:37], v[110:111]
	v_add_f64 v[110:111], v[159:160], -v[54:55]
	v_fma_f64 v[158:159], v[56:57], -0.5, v[28:29]
	v_fma_f64 v[29:30], v[58:59], -0.5, v[30:31]
	v_mul_lo_u16 v97, 0xab, v153
	v_add_f64 v[141:142], v[142:143], v[52:53]
	v_fma_f64 v[118:119], v[118:119], -0.5, v[12:13]
	v_fma_f64 v[120:121], v[120:121], -0.5, v[14:15]
	;; [unrolled: 1-line block ×3, first 2 shown]
	v_lshrrev_b16 v52, 9, v97
	v_fma_f64 v[116:117], v[116:117], -0.5, v[10:11]
	v_add_f64 v[160:161], v[62:63], -v[70:71]
	v_add_f64 v[162:163], v[60:61], -v[68:69]
	v_fma_f64 v[8:9], v[76:77], s[0:1], v[126:127]
	v_mul_lo_u16 v48, v52, 3
	v_fma_f64 v[168:169], v[44:45], -0.5, v[64:65]
	v_fma_f64 v[170:171], v[46:47], -0.5, v[66:67]
	v_fma_f64 v[10:11], v[78:79], s[4:5], v[128:129]
	v_fma_f64 v[12:13], v[76:77], s[4:5], v[126:127]
	;; [unrolled: 1-line block ×3, first 2 shown]
	v_add_f64 v[164:165], v[40:41], v[68:69]
	v_add_f64 v[166:167], v[42:43], v[70:71]
	v_fma_f64 v[40:41], v[80:81], s[0:1], v[130:131]
	v_fma_f64 v[42:43], v[82:83], s[4:5], v[132:133]
	;; [unrolled: 1-line block ×4, first 2 shown]
	v_sub_nc_u16 v28, v96, v48
	v_fma_f64 v[48:49], v[84:85], s[0:1], v[150:151]
	v_fma_f64 v[50:51], v[86:87], s[4:5], v[135:136]
	v_add_f64 v[143:144], v[144:145], v[54:55]
	v_mad_u32_u24 v145, v96, 48, 0
	v_fma_f64 v[53:54], v[84:85], s[4:5], v[150:151]
	v_fma_f64 v[55:56], v[86:87], s[0:1], v[135:136]
	;; [unrolled: 1-line block ×10, first 2 shown]
	s_barrier
	buffer_gl0_inv
	ds_write_b128 v145, v[16:19]
	ds_write_b128 v145, v[20:23] offset:6000
	ds_write_b128 v145, v[24:27] offset:12000
	;; [unrolled: 1-line block ×4, first 2 shown]
	ds_write_b64 v145, v[141:142] offset:30000
	v_fma_f64 v[33:34], v[110:111], s[0:1], v[122:123]
	v_fma_f64 v[35:36], v[110:111], s[4:5], v[122:123]
	;; [unrolled: 1-line block ×3, first 2 shown]
	v_add_nc_u32_e32 v149, 0x7d, v96
	v_fma_f64 v[73:74], v[112:113], s[0:1], v[124:125]
	v_mov_b32_e32 v134, 6
	v_fma_f64 v[75:76], v[154:155], s[0:1], v[158:159]
	v_fma_f64 v[77:78], v[154:155], s[4:5], v[158:159]
	;; [unrolled: 1-line block ×4, first 2 shown]
	v_and_b32_e32 v151, 0xff, v149
	v_fma_f64 v[16:17], v[92:93], s[0:1], v[118:119]
	v_fma_f64 v[18:19], v[94:95], s[4:5], v[120:121]
	v_lshlrev_b32_sdwa v177, v134, v28 dst_sel:DWORD dst_unused:UNUSED_PAD src0_sel:DWORD src1_sel:BYTE_0
	v_fma_f64 v[20:21], v[92:93], s[4:5], v[118:119]
	v_fma_f64 v[22:23], v[94:95], s[0:1], v[120:121]
	;; [unrolled: 1-line block ×4, first 2 shown]
	v_add_nc_u32_e32 v97, 0x7538, v145
	v_add_nc_u32_e32 v172, 0x7548, v145
	;; [unrolled: 1-line block ×6, first 2 shown]
	v_fma_f64 v[29:30], v[102:103], s[4:5], v[114:115]
	v_fma_f64 v[31:32], v[104:105], s[0:1], v[116:117]
	;; [unrolled: 1-line block ×6, first 2 shown]
	ds_write_b64 v145, v[137:138] offset:36000
	ds_write_b128 v145, v[8:11] offset:16
	ds_write_b128 v145, v[12:15] offset:32
	;; [unrolled: 1-line block ×10, first 2 shown]
	ds_write2_b64 v97, v[143:144], v[33:34] offset1:1
	ds_write2_b64 v172, v[37:38], v[35:36] offset1:1
	ds_write_b64 v145, v[73:74] offset:30040
	ds_write2_b64 v173, v[139:140], v[75:76] offset1:1
	ds_write2_b64 v174, v[79:80], v[77:78] offset1:1
	ds_write_b64 v145, v[81:82] offset:36040
	ds_write_b128 v145, v[0:3] offset:42000
	ds_write_b128 v145, v[16:19] offset:42016
	;; [unrolled: 1-line block ×6, first 2 shown]
	ds_write_b64 v145, v[164:165] offset:54000
	ds_write2_b64 v175, v[166:167], v[83:84] offset1:1
	ds_write2_b64 v176, v[87:88], v[85:86] offset1:1
	ds_write_b64 v145, v[89:90] offset:54040
	v_mul_lo_u16 v4, 0xab, v151
	s_waitcnt lgkmcnt(0)
	s_barrier
	buffer_gl0_inv
	s_clause 0x2
	global_load_dwordx4 v[0:3], v177, s[12:13]
	global_load_dwordx4 v[16:19], v177, s[12:13] offset:16
	global_load_dwordx4 v[12:15], v177, s[12:13] offset:32
	v_lshrrev_b16 v141, 9, v4
	v_add_nc_u32_e32 v148, 0xfa, v96
	v_mov_b32_e32 v49, 0xaaab
	v_add_nc_u32_e32 v147, 0x177, v96
	v_add_nc_u32_e32 v146, 0x1f4, v96
	v_mul_lo_u16 v4, v141, 3
	v_add_nc_u32_e32 v97, 0x271, v96
	v_mul_u32_u24_sdwa v30, v148, v49 dst_sel:DWORD dst_unused:UNUSED_PAD src0_sel:WORD_0 src1_sel:DWORD
	v_mul_u32_u24_sdwa v46, v147, v49 dst_sel:DWORD dst_unused:UNUSED_PAD src0_sel:WORD_0 src1_sel:DWORD
	;; [unrolled: 1-line block ×3, first 2 shown]
	v_sub_nc_u16 v135, v149, v4
	v_mul_u32_u24_sdwa v49, v97, v49 dst_sel:DWORD dst_unused:UNUSED_PAD src0_sel:WORD_0 src1_sel:DWORD
	v_lshrrev_b32_e32 v142, 17, v30
	v_lshrrev_b32_e32 v145, 17, v46
	;; [unrolled: 1-line block ×3, first 2 shown]
	v_lshlrev_b32_sdwa v29, v134, v135 dst_sel:DWORD dst_unused:UNUSED_PAD src0_sel:DWORD src1_sel:BYTE_0
	s_clause 0x3
	global_load_dwordx4 v[8:11], v177, s[12:13] offset:48
	global_load_dwordx4 v[4:7], v29, s[12:13]
	global_load_dwordx4 v[20:23], v29, s[12:13] offset:16
	global_load_dwordx4 v[24:27], v29, s[12:13] offset:32
	v_mul_lo_u16 v30, v142, 3
	v_mul_lo_u16 v46, v145, 3
	v_mul_lo_u16 v51, v136, 3
	v_lshrrev_b32_e32 v138, 17, v49
	v_mov_b32_e32 v143, 0xf0
	v_sub_nc_u16 v144, v148, v30
	v_sub_nc_u16 v154, v147, v46
	;; [unrolled: 1-line block ×3, first 2 shown]
	v_mul_lo_u16 v49, v138, 3
	v_mov_b32_e32 v150, 4
	v_lshlrev_b32_sdwa v45, v134, v144 dst_sel:DWORD dst_unused:UNUSED_PAD src0_sel:DWORD src1_sel:WORD_0
	s_clause 0x3
	global_load_dwordx4 v[29:32], v29, s[12:13] offset:48
	global_load_dwordx4 v[33:36], v45, s[12:13]
	global_load_dwordx4 v[37:40], v45, s[12:13] offset:16
	global_load_dwordx4 v[41:44], v45, s[12:13] offset:32
	v_lshlrev_b32_sdwa v50, v134, v154 dst_sel:DWORD dst_unused:UNUSED_PAD src0_sel:DWORD src1_sel:WORD_0
	s_clause 0x3
	global_load_dwordx4 v[45:48], v45, s[12:13] offset:48
	global_load_dwordx4 v[53:56], v50, s[12:13]
	global_load_dwordx4 v[58:61], v50, s[12:13] offset:16
	global_load_dwordx4 v[66:69], v50, s[12:13] offset:32
	;; [unrolled: 6-line block ×3, first 2 shown]
	global_load_dwordx4 v[90:93], v51, s[12:13] offset:48
	v_sub_nc_u16 v139, v97, v49
	s_mov_b32 s4, 0x372fe950
	s_mov_b32 s5, 0x3fd3c6ef
	v_lshlrev_b32_sdwa v137, v150, v137 dst_sel:DWORD dst_unused:UNUSED_PAD src0_sel:DWORD src1_sel:WORD_0
	v_mul_u32_u24_e32 v138, 0xf0, v138
	v_lshlrev_b32_sdwa v51, v134, v139 dst_sel:DWORD dst_unused:UNUSED_PAD src0_sel:DWORD src1_sel:WORD_0
	s_clause 0x1
	global_load_dwordx4 v[104:107], v51, s[12:13]
	global_load_dwordx4 v[114:117], v51, s[12:13] offset:16
	ds_read_b128 v[62:65], v152 offset:12000
	ds_read_b128 v[86:89], v152 offset:24000
	;; [unrolled: 1-line block ×5, first 2 shown]
	s_clause 0x1
	global_load_dwordx4 v[118:121], v51, s[12:13] offset:32
	global_load_dwordx4 v[122:125], v51, s[12:13] offset:48
	v_lshlrev_b32_sdwa v139, v150, v139 dst_sel:DWORD dst_unused:UNUSED_PAD src0_sel:DWORD src1_sel:WORD_0
	v_cmp_gt_u32_e64 s0, 0x4b, v96
	s_mov_b32 s20, s4
	v_add3_u32 v138, 0, v138, v139
	s_waitcnt vmcnt(22) lgkmcnt(3)
	v_mul_f64 v[94:95], v[88:89], v[18:19]
	v_mul_f64 v[18:19], v[86:87], v[18:19]
	;; [unrolled: 1-line block ×4, first 2 shown]
	v_fma_f64 v[157:158], v[86:87], v[16:17], v[94:95]
	v_fma_f64 v[159:160], v[88:89], v[16:17], -v[18:19]
	s_waitcnt vmcnt(20) lgkmcnt(2)
	v_mul_f64 v[18:19], v[126:127], v[10:11]
	v_fma_f64 v[49:50], v[62:63], v[0:1], v[49:50]
	v_fma_f64 v[155:156], v[64:65], v[0:1], -v[2:3]
	ds_read_b128 v[0:3], v152 offset:26000
	v_mul_f64 v[64:65], v[128:129], v[10:11]
	s_waitcnt vmcnt(19) lgkmcnt(2)
	v_mul_f64 v[86:87], v[132:133], v[6:7]
	v_fma_f64 v[128:129], v[128:129], v[8:9], -v[18:19]
	s_waitcnt vmcnt(18) lgkmcnt(0)
	v_mul_f64 v[88:89], v[2:3], v[22:23]
	v_mul_f64 v[18:19], v[0:1], v[22:23]
	v_fma_f64 v[126:127], v[126:127], v[8:9], v[64:65]
	v_fma_f64 v[165:166], v[0:1], v[20:21], v[88:89]
	v_fma_f64 v[167:168], v[2:3], v[20:21], -v[18:19]
	ds_read_b128 v[0:3], v152 offset:40000
	v_mul_f64 v[62:63], v[108:109], v[14:15]
	v_mul_f64 v[102:103], v[110:111], v[14:15]
	ds_read_b128 v[14:17], v152 offset:38000
	v_fma_f64 v[163:164], v[110:111], v[12:13], -v[62:63]
	v_mul_f64 v[62:63], v[130:131], v[6:7]
	v_fma_f64 v[161:162], v[108:109], v[12:13], v[102:103]
	ds_read_b128 v[10:13], v152 offset:50000
	s_waitcnt vmcnt(17) lgkmcnt(1)
	v_mul_f64 v[22:23], v[16:17], v[26:27]
	v_fma_f64 v[130:131], v[130:131], v[4:5], v[86:87]
	ds_read_b128 v[6:9], v152 offset:16000
	v_fma_f64 v[132:133], v[132:133], v[4:5], -v[62:63]
	v_mul_f64 v[4:5], v[14:15], v[26:27]
	s_waitcnt vmcnt(16) lgkmcnt(1)
	v_mul_f64 v[26:27], v[12:13], v[31:32]
	v_mul_f64 v[18:19], v[10:11], v[31:32]
	v_fma_f64 v[31:32], v[14:15], v[24:25], v[22:23]
	ds_read_b128 v[62:65], v152 offset:28000
	v_fma_f64 v[24:25], v[16:17], v[24:25], -v[4:5]
	ds_read_b128 v[14:17], v152 offset:52000
	s_waitcnt vmcnt(15) lgkmcnt(2)
	v_mul_f64 v[20:21], v[8:9], v[35:36]
	v_mul_f64 v[4:5], v[6:7], v[35:36]
	v_fma_f64 v[26:27], v[10:11], v[29:30], v[26:27]
	v_fma_f64 v[29:30], v[12:13], v[29:30], -v[18:19]
	s_waitcnt vmcnt(13)
	v_mul_f64 v[35:36], v[2:3], v[43:44]
	ds_read_b128 v[10:13], v152 offset:18000
	v_fma_f64 v[169:170], v[6:7], v[33:34], v[20:21]
	v_fma_f64 v[171:172], v[8:9], v[33:34], -v[4:5]
	ds_read_b128 v[4:7], v152 offset:30000
	s_waitcnt lgkmcnt(3)
	v_mul_f64 v[22:23], v[64:65], v[39:40]
	v_mul_f64 v[18:19], v[62:63], v[39:40]
	;; [unrolled: 1-line block ×3, first 2 shown]
	s_waitcnt vmcnt(12) lgkmcnt(2)
	v_mul_f64 v[33:34], v[16:17], v[47:48]
	v_fma_f64 v[43:44], v[62:63], v[37:38], v[22:23]
	v_mul_f64 v[22:23], v[14:15], v[47:48]
	v_fma_f64 v[173:174], v[64:65], v[37:38], -v[18:19]
	v_fma_f64 v[47:48], v[0:1], v[41:42], v[35:36]
	v_fma_f64 v[40:41], v[2:3], v[41:42], -v[8:9]
	ds_read_b128 v[0:3], v152 offset:54000
	s_waitcnt vmcnt(11) lgkmcnt(2)
	v_mul_f64 v[37:38], v[12:13], v[55:56]
	v_mul_f64 v[8:9], v[10:11], v[55:56]
	s_waitcnt vmcnt(10) lgkmcnt(1)
	v_mul_f64 v[35:36], v[6:7], v[60:61]
	v_fma_f64 v[175:176], v[14:15], v[45:46], v[33:34]
	ds_read_b128 v[18:21], v152 offset:42000
	v_fma_f64 v[45:46], v[16:17], v[45:46], -v[22:23]
	v_mul_f64 v[22:23], v[4:5], v[60:61]
	ds_read_b128 v[14:17], v152 offset:20000
	v_fma_f64 v[60:61], v[10:11], v[53:54], v[37:38]
	v_fma_f64 v[56:57], v[12:13], v[53:54], -v[8:9]
	s_waitcnt vmcnt(8) lgkmcnt(2)
	v_mul_f64 v[37:38], v[2:3], v[72:73]
	v_fma_f64 v[62:63], v[4:5], v[58:59], v[35:36]
	ds_read_b128 v[8:11], v152 offset:32000
	v_add_f64 v[53:54], v[49:50], -v[126:127]
	v_fma_f64 v[58:59], v[6:7], v[58:59], -v[22:23]
	v_mul_f64 v[22:23], v[0:1], v[72:73]
	ds_read_b128 v[4:7], v152 offset:44000
	s_waitcnt lgkmcnt(3)
	v_mul_f64 v[33:34], v[20:21], v[68:69]
	v_mul_f64 v[12:13], v[18:19], v[68:69]
	v_add_f64 v[72:73], v[128:129], -v[163:164]
	v_fma_f64 v[64:65], v[18:19], v[66:67], v[33:34]
	v_fma_f64 v[68:69], v[20:21], v[66:67], -v[12:13]
	v_fma_f64 v[66:67], v[0:1], v[70:71], v[37:38]
	v_fma_f64 v[70:71], v[2:3], v[70:71], -v[22:23]
	ds_read_b128 v[0:3], v152 offset:56000
	s_waitcnt vmcnt(7) lgkmcnt(3)
	v_mul_f64 v[35:36], v[16:17], v[76:77]
	v_mul_f64 v[12:13], v[14:15], v[76:77]
	s_waitcnt vmcnt(6) lgkmcnt(2)
	v_mul_f64 v[33:34], v[8:9], v[80:81]
	s_waitcnt vmcnt(5) lgkmcnt(1)
	v_mul_f64 v[22:23], v[6:7], v[84:85]
	v_mul_f64 v[37:38], v[4:5], v[84:85]
	;; [unrolled: 1-line block ×3, first 2 shown]
	v_add_f64 v[76:77], v[161:162], -v[126:127]
	v_add_f64 v[80:81], v[163:164], -v[128:129]
	v_fma_f64 v[108:109], v[14:15], v[74:75], v[35:36]
	v_fma_f64 v[86:87], v[16:17], v[74:75], -v[12:13]
	ds_read_b128 v[12:15], v152
	ds_read_b128 v[16:19], v152 offset:22000
	v_fma_f64 v[110:111], v[10:11], v[78:79], -v[33:34]
	s_waitcnt vmcnt(4) lgkmcnt(2)
	v_mul_f64 v[33:34], v[0:1], v[92:93]
	v_fma_f64 v[84:85], v[4:5], v[82:83], v[22:23]
	v_fma_f64 v[88:89], v[6:7], v[82:83], -v[37:38]
	v_fma_f64 v[112:113], v[8:9], v[78:79], v[20:21]
	v_mul_f64 v[20:21], v[2:3], v[92:93]
	ds_read_b128 v[8:11], v152 offset:34000
	v_add_f64 v[74:75], v[159:160], -v[163:164]
	v_add_f64 v[78:79], v[159:160], -v[155:156]
	s_waitcnt lgkmcnt(2)
	v_add_f64 v[4:5], v[12:13], v[49:50]
	v_add_f64 v[6:7], v[14:15], v[155:156]
	s_waitcnt vmcnt(3) lgkmcnt(1)
	v_mul_f64 v[22:23], v[18:19], v[106:107]
	v_mul_f64 v[35:36], v[16:17], v[106:107]
	v_fma_f64 v[102:103], v[2:3], v[90:91], -v[33:34]
	v_add_f64 v[33:34], v[49:50], v[126:127]
	v_fma_f64 v[106:107], v[0:1], v[90:91], v[20:21]
	v_add_f64 v[20:21], v[159:160], v[163:164]
	v_add_f64 v[2:3], v[4:5], v[157:158]
	;; [unrolled: 1-line block ×4, first 2 shown]
	v_fma_f64 v[92:93], v[16:17], v[104:105], v[22:23]
	v_fma_f64 v[90:91], v[18:19], v[104:105], -v[35:36]
	v_add_f64 v[16:17], v[155:156], v[128:129]
	v_add_f64 v[22:23], v[155:156], -v[128:129]
	v_fma_f64 v[20:21], v[20:21], -0.5, v[14:15]
	v_add_f64 v[18:19], v[2:3], v[161:162]
	v_add_f64 v[4:5], v[4:5], v[163:164]
	v_fma_f64 v[35:36], v[6:7], -0.5, v[12:13]
	v_fma_f64 v[12:13], v[33:34], -0.5, v[12:13]
	v_add_f64 v[33:34], v[157:158], -v[49:50]
	v_fma_f64 v[14:15], v[16:17], -0.5, v[14:15]
	v_add_f64 v[16:17], v[18:19], v[126:127]
	v_add_f64 v[18:19], v[4:5], v[128:129]
	ds_read_b128 v[4:7], v152 offset:58000
	s_waitcnt vmcnt(2) lgkmcnt(1)
	v_mul_f64 v[37:38], v[10:11], v[116:117]
	v_mul_f64 v[0:1], v[8:9], v[116:117]
	v_fma_f64 v[82:83], v[22:23], s[6:7], v[35:36]
	v_fma_f64 v[35:36], v[22:23], s[8:9], v[35:36]
	v_add_f64 v[33:34], v[33:34], v[76:77]
	v_add_f64 v[76:77], v[78:79], v[80:81]
	v_fma_f64 v[94:95], v[8:9], v[114:115], v[37:38]
	v_add_f64 v[37:38], v[155:156], -v[159:160]
	v_fma_f64 v[104:105], v[10:11], v[114:115], -v[0:1]
	v_add_f64 v[8:9], v[49:50], -v[157:158]
	v_add_f64 v[10:11], v[126:127], -v[161:162]
	;; [unrolled: 1-line block ×3, first 2 shown]
	ds_read_b128 v[0:3], v152 offset:46000
	v_fma_f64 v[80:81], v[74:75], s[14:15], v[82:83]
	v_fma_f64 v[82:83], v[74:75], s[16:17], v[35:36]
	v_add_f64 v[159:160], v[169:170], -v[175:176]
	v_add_f64 v[161:162], v[112:113], -v[84:85]
	v_add_f64 v[126:127], v[37:38], v[72:73]
	v_fma_f64 v[37:38], v[74:75], s[8:9], v[12:13]
	v_fma_f64 v[12:13], v[74:75], s[6:7], v[12:13]
	v_add_f64 v[8:9], v[8:9], v[10:11]
	v_fma_f64 v[10:11], v[53:54], s[8:9], v[20:21]
	v_fma_f64 v[20:21], v[53:54], s[6:7], v[20:21]
	;; [unrolled: 1-line block ×3, first 2 shown]
	s_waitcnt vmcnt(1) lgkmcnt(0)
	v_mul_f64 v[78:79], v[2:3], v[120:121]
	v_mul_f64 v[35:36], v[0:1], v[120:121]
	s_waitcnt vmcnt(0)
	v_mul_f64 v[74:75], v[6:7], v[124:125]
	v_fma_f64 v[14:15], v[49:50], s[8:9], v[14:15]
	v_fma_f64 v[120:121], v[22:23], s[14:15], v[37:38]
	v_mul_f64 v[37:38], v[4:5], v[124:125]
	v_fma_f64 v[12:13], v[22:23], s[16:17], v[12:13]
	v_fma_f64 v[10:11], v[49:50], s[16:17], v[10:11]
	;; [unrolled: 1-line block ×3, first 2 shown]
	v_mul_u32_u24_sdwa v20, v52, v143 dst_sel:DWORD dst_unused:UNUSED_PAD src0_sel:WORD_0 src1_sel:DWORD
	v_lshlrev_b32_sdwa v21, v150, v28 dst_sel:DWORD dst_unused:UNUSED_PAD src0_sel:DWORD src1_sel:BYTE_0
	v_fma_f64 v[124:125], v[53:54], s[16:17], v[72:73]
	v_fma_f64 v[128:129], v[0:1], v[118:119], v[78:79]
	v_fma_f64 v[155:156], v[2:3], v[118:119], -v[35:36]
	v_fma_f64 v[157:158], v[4:5], v[122:123], v[74:75]
	v_add3_u32 v140, 0, v20, v21
	ds_read_b128 v[114:117], v152 offset:10000
	ds_read_b128 v[20:23], v152 offset:2000
	v_fma_f64 v[4:5], v[8:9], s[4:5], v[80:81]
	ds_read_b128 v[72:75], v152 offset:6000
	v_fma_f64 v[0:1], v[8:9], s[4:5], v[82:83]
	v_fma_f64 v[14:15], v[53:54], s[14:15], v[14:15]
	v_add_f64 v[82:83], v[24:25], -v[29:30]
	v_add_f64 v[78:79], v[132:133], -v[167:168]
	;; [unrolled: 1-line block ×3, first 2 shown]
	v_mul_u32_u24_sdwa v143, v141, v143 dst_sel:DWORD dst_unused:UNUSED_PAD src0_sel:WORD_0 src1_sel:DWORD
	v_mul_u32_u24_e32 v141, 0xf0, v142
	v_fma_f64 v[8:9], v[33:34], s[4:5], v[120:121]
	v_fma_f64 v[122:123], v[6:7], v[122:123], -v[37:38]
	ds_read_b128 v[36:39], v152 offset:4000
	ds_read_b128 v[118:121], v152 offset:8000
	s_waitcnt lgkmcnt(0)
	s_barrier
	buffer_gl0_inv
	ds_write_b128 v140, v[16:19]
	v_add_f64 v[16:17], v[165:166], v[31:32]
	v_add_f64 v[18:19], v[167:168], v[24:25]
	v_fma_f64 v[2:3], v[126:127], s[4:5], v[49:50]
	v_fma_f64 v[12:13], v[33:34], s[4:5], v[12:13]
	v_add_f64 v[33:34], v[130:131], v[26:27]
	v_add_f64 v[49:50], v[132:133], v[29:30]
	v_fma_f64 v[6:7], v[126:127], s[4:5], v[10:11]
	v_fma_f64 v[10:11], v[76:77], s[4:5], v[124:125]
	;; [unrolled: 1-line block ×3, first 2 shown]
	v_add_f64 v[76:77], v[167:168], -v[24:25]
	v_add_f64 v[126:127], v[31:32], -v[26:27]
	;; [unrolled: 1-line block ×3, first 2 shown]
	v_lshlrev_b32_sdwa v142, v150, v144 dst_sel:DWORD dst_unused:UNUSED_PAD src0_sel:DWORD src1_sel:WORD_0
	v_lshlrev_b32_sdwa v144, v150, v154 dst_sel:DWORD dst_unused:UNUSED_PAD src0_sel:DWORD src1_sel:WORD_0
	v_add3_u32 v142, 0, v141, v142
	v_mul_u32_u24_e32 v141, 0xf0, v145
	v_mul_u32_u24_e32 v145, 0xf0, v136
	v_fma_f64 v[51:52], v[16:17], -0.5, v[20:21]
	v_fma_f64 v[53:54], v[18:19], -0.5, v[22:23]
	v_add_f64 v[16:17], v[22:23], v[132:133]
	v_add_f64 v[18:19], v[20:21], v[130:131]
	v_fma_f64 v[33:34], v[33:34], -0.5, v[20:21]
	v_fma_f64 v[49:50], v[49:50], -0.5, v[22:23]
	v_add_f64 v[22:23], v[167:168], -v[132:133]
	v_add_f64 v[132:133], v[47:48], -v[175:176]
	v_add3_u32 v141, 0, v141, v144
	v_mul_lo_u16 v144, 0x89, v153
	v_lshrrev_b16 v136, 11, v144
	v_add3_u32 v144, 0, v145, v137
	v_lshlrev_b32_sdwa v145, v150, v135 dst_sel:DWORD dst_unused:UNUSED_PAD src0_sel:DWORD src1_sel:BYTE_0
	v_mul_lo_u16 v137, v136, 15
	v_add3_u32 v139, 0, v143, v145
	v_add_f64 v[16:17], v[16:17], v[167:168]
	v_add_f64 v[18:19], v[18:19], v[165:166]
	v_sub_nc_u16 v137, v96, v137
	v_add_f64 v[82:83], v[22:23], v[82:83]
	v_fma_f64 v[22:23], v[76:77], s[6:7], v[33:34]
	v_lshlrev_b32_sdwa v135, v134, v137 dst_sel:DWORD dst_unused:UNUSED_PAD src0_sel:DWORD src1_sel:BYTE_0
	v_add_f64 v[16:17], v[16:17], v[24:25]
	v_add_f64 v[20:21], v[18:19], v[31:32]
	v_add_f64 v[24:25], v[29:30], -v[24:25]
	v_add_f64 v[18:19], v[16:17], v[29:30]
	v_add_f64 v[16:17], v[20:21], v[26:27]
	v_add_f64 v[20:21], v[165:166], -v[130:131]
	v_add_f64 v[28:29], v[165:166], -v[31:32]
	;; [unrolled: 1-line block ×4, first 2 shown]
	v_add_f64 v[78:79], v[78:79], v[24:25]
	v_fma_f64 v[24:25], v[80:81], s[6:7], v[51:52]
	v_add_f64 v[130:131], v[43:44], -v[47:48]
	v_add_f64 v[126:127], v[20:21], v[126:127]
	v_fma_f64 v[20:21], v[76:77], s[8:9], v[33:34]
	v_fma_f64 v[32:33], v[80:81], s[8:9], v[51:52]
	;; [unrolled: 1-line block ×7, first 2 shown]
	v_add_f64 v[30:31], v[124:125], v[30:31]
	v_add_f64 v[124:125], v[171:172], -v[45:46]
	v_fma_f64 v[20:21], v[80:81], s[14:15], v[20:21]
	v_add_f64 v[80:81], v[169:170], v[175:176]
	v_fma_f64 v[22:23], v[26:27], s[16:17], v[22:23]
	v_fma_f64 v[26:27], v[26:27], s[14:15], v[49:50]
	;; [unrolled: 1-line block ×8, first 2 shown]
	v_add_f64 v[126:127], v[40:41], -v[45:46]
	v_fma_f64 v[22:23], v[82:83], s[4:5], v[22:23]
	v_fma_f64 v[26:27], v[82:83], s[4:5], v[26:27]
	;; [unrolled: 1-line block ×3, first 2 shown]
	v_add_f64 v[49:50], v[171:172], v[45:46]
	v_fma_f64 v[28:29], v[30:31], s[4:5], v[76:77]
	v_fma_f64 v[30:31], v[78:79], s[4:5], v[53:54]
	v_add_f64 v[53:54], v[173:174], v[40:41]
	v_fma_f64 v[34:35], v[78:79], s[4:5], v[51:52]
	v_add_f64 v[51:52], v[43:44], v[47:48]
	v_fma_f64 v[76:77], v[80:81], -0.5, v[36:37]
	v_add_f64 v[78:79], v[173:174], -v[171:172]
	v_add_f64 v[80:81], v[173:174], -v[40:41]
	;; [unrolled: 1-line block ×3, first 2 shown]
	v_fma_f64 v[49:50], v[49:50], -0.5, v[38:39]
	v_fma_f64 v[53:54], v[53:54], -0.5, v[38:39]
	v_add_f64 v[38:39], v[38:39], v[171:172]
	v_fma_f64 v[51:52], v[51:52], -0.5, v[36:37]
	v_add_f64 v[36:37], v[36:37], v[169:170]
	v_add_f64 v[78:79], v[78:79], v[126:127]
	v_add_f64 v[171:172], v[90:91], -v[122:123]
	v_add_f64 v[38:39], v[38:39], v[173:174]
	v_add_f64 v[173:174], v[155:156], -v[122:123]
	v_add_f64 v[36:37], v[36:37], v[43:44]
	v_add_f64 v[38:39], v[38:39], v[40:41]
	v_add_f64 v[40:41], v[45:46], -v[40:41]
	v_add_f64 v[36:37], v[36:37], v[47:48]
	v_add_f64 v[47:48], v[175:176], -v[47:48]
	;; [unrolled: 2-line block ×3, first 2 shown]
	v_add_f64 v[42:43], v[169:170], -v[43:44]
	v_add_f64 v[82:83], v[82:83], v[40:41]
	v_fma_f64 v[40:41], v[80:81], s[8:9], v[76:77]
	v_add_f64 v[36:37], v[36:37], v[175:176]
	v_add_f64 v[175:176], v[94:95], -v[128:129]
	v_add_f64 v[44:45], v[45:46], v[132:133]
	v_add_f64 v[126:127], v[42:43], v[47:48]
	v_fma_f64 v[42:43], v[80:81], s[6:7], v[76:77]
	v_fma_f64 v[46:47], v[124:125], s[6:7], v[51:52]
	;; [unrolled: 1-line block ×17, first 2 shown]
	v_add_f64 v[76:77], v[60:61], v[66:67]
	v_fma_f64 v[52:53], v[126:127], s[4:5], v[132:133]
	v_add_f64 v[130:131], v[56:57], -v[58:59]
	v_add_f64 v[132:133], v[56:57], -v[70:71]
	;; [unrolled: 1-line block ×3, first 2 shown]
	v_fma_f64 v[42:43], v[78:79], s[4:5], v[42:43]
	v_fma_f64 v[46:47], v[78:79], s[4:5], v[48:49]
	v_fma_f64 v[54:55], v[82:83], s[4:5], v[80:81]
	v_add_f64 v[78:79], v[56:57], v[70:71]
	v_fma_f64 v[48:49], v[126:127], s[4:5], v[50:51]
	v_fma_f64 v[50:51], v[82:83], s[4:5], v[124:125]
	v_add_f64 v[80:81], v[62:63], v[64:65]
	v_add_f64 v[82:83], v[58:59], v[68:69]
	v_fma_f64 v[76:77], v[76:77], -0.5, v[72:73]
	v_add_f64 v[124:125], v[58:59], -v[56:57]
	v_add_f64 v[126:127], v[58:59], -v[68:69]
	v_fma_f64 v[78:79], v[78:79], -0.5, v[74:75]
	v_fma_f64 v[80:81], v[80:81], -0.5, v[72:73]
	;; [unrolled: 1-line block ×3, first 2 shown]
	v_add_f64 v[74:75], v[74:75], v[56:57]
	v_add_f64 v[72:73], v[72:73], v[60:61]
	;; [unrolled: 1-line block ×6, first 2 shown]
	v_add_f64 v[68:69], v[70:71], -v[68:69]
	v_add_f64 v[58:59], v[74:75], v[70:71]
	v_add_f64 v[56:57], v[72:73], v[66:67]
	v_add_f64 v[70:71], v[62:63], -v[60:61]
	v_add_f64 v[72:73], v[62:63], -v[64:65]
	;; [unrolled: 1-line block ×6, first 2 shown]
	v_add_f64 v[130:131], v[130:131], v[68:69]
	v_fma_f64 v[68:69], v[132:133], s[6:7], v[80:81]
	v_add_f64 v[66:67], v[70:71], v[74:75]
	v_add_f64 v[70:71], v[124:125], v[159:160]
	;; [unrolled: 1-line block ×3, first 2 shown]
	v_fma_f64 v[62:63], v[126:127], s[8:9], v[76:77]
	v_fma_f64 v[64:65], v[126:127], s[6:7], v[76:77]
	;; [unrolled: 1-line block ×8, first 2 shown]
	v_add_f64 v[159:160], v[108:109], -v[106:107]
	v_fma_f64 v[62:63], v[132:133], s[14:15], v[62:63]
	v_fma_f64 v[64:65], v[132:133], s[16:17], v[64:65]
	;; [unrolled: 1-line block ×8, first 2 shown]
	v_add_f64 v[82:83], v[102:103], -v[88:89]
	v_add_f64 v[132:133], v[110:111], -v[88:89]
	v_fma_f64 v[60:61], v[66:67], s[4:5], v[62:63]
	v_fma_f64 v[64:65], v[66:67], s[4:5], v[64:65]
	;; [unrolled: 1-line block ×4, first 2 shown]
	v_add_f64 v[76:77], v[108:109], -v[112:113]
	v_add_f64 v[78:79], v[106:107], -v[84:85]
	v_fma_f64 v[68:69], v[124:125], s[4:5], v[126:127]
	v_fma_f64 v[70:71], v[130:131], s[4:5], v[80:81]
	v_add_f64 v[80:81], v[86:87], -v[110:111]
	v_fma_f64 v[74:75], v[130:131], s[4:5], v[74:75]
	v_add_f64 v[130:131], v[86:87], -v[102:103]
	v_add_f64 v[124:125], v[76:77], v[78:79]
	v_add_f64 v[76:77], v[112:113], v[84:85]
	;; [unrolled: 1-line block ×4, first 2 shown]
	v_fma_f64 v[80:81], v[76:77], -0.5, v[118:119]
	v_fma_f64 v[126:127], v[78:79], -0.5, v[120:121]
	v_fma_f64 v[76:77], v[130:131], s[6:7], v[80:81]
	v_fma_f64 v[78:79], v[159:160], s[8:9], v[126:127]
	;; [unrolled: 1-line block ×12, first 2 shown]
	v_add_f64 v[124:125], v[108:109], v[106:107]
	v_add_f64 v[126:127], v[86:87], v[102:103]
	v_fma_f64 v[124:125], v[124:125], -0.5, v[118:119]
	v_fma_f64 v[126:127], v[126:127], -0.5, v[120:121]
	v_add_f64 v[118:119], v[118:119], v[108:109]
	v_add_f64 v[120:121], v[120:121], v[86:87]
	v_add_f64 v[108:109], v[112:113], -v[108:109]
	v_fma_f64 v[169:170], v[132:133], s[8:9], v[124:125]
	v_fma_f64 v[124:125], v[132:133], s[6:7], v[124:125]
	v_add_f64 v[112:113], v[118:119], v[112:113]
	v_add_f64 v[118:119], v[110:111], -v[86:87]
	v_add_f64 v[86:87], v[120:121], v[110:111]
	v_add_f64 v[110:111], v[92:93], v[157:158]
	v_fma_f64 v[132:133], v[161:162], s[6:7], v[126:127]
	v_fma_f64 v[126:127], v[161:162], s[8:9], v[126:127]
	v_add_f64 v[161:162], v[104:105], -v[155:156]
	v_add_f64 v[112:113], v[112:113], v[84:85]
	v_add_f64 v[86:87], v[86:87], v[88:89]
	v_fma_f64 v[120:121], v[110:111], -0.5, v[114:115]
	v_add_f64 v[110:111], v[90:91], v[122:123]
	v_add_f64 v[86:87], v[86:87], v[102:103]
	v_add_f64 v[102:103], v[88:89], -v[102:103]
	v_fma_f64 v[163:164], v[110:111], -0.5, v[116:117]
	v_add_f64 v[110:111], v[94:95], v[128:129]
	v_fma_f64 v[165:166], v[110:111], -0.5, v[114:115]
	v_add_f64 v[110:111], v[104:105], v[155:156]
	;; [unrolled: 2-line block ×3, first 2 shown]
	v_add_f64 v[114:115], v[116:117], v[90:91]
	v_add_f64 v[116:117], v[84:85], -v[106:107]
	v_add_f64 v[84:85], v[112:113], v[106:107]
	v_add_f64 v[112:113], v[118:119], v[102:103]
	v_fma_f64 v[118:119], v[161:162], s[8:9], v[120:121]
	v_add_f64 v[106:107], v[110:111], v[94:95]
	v_add_f64 v[88:89], v[114:115], v[104:105]
	v_add_f64 v[114:115], v[104:105], -v[90:91]
	v_add_f64 v[104:105], v[90:91], -v[104:105]
	v_add_f64 v[110:111], v[108:109], v[116:117]
	v_fma_f64 v[116:117], v[159:160], s[14:15], v[126:127]
	v_fma_f64 v[126:127], v[171:172], s[8:9], v[165:166]
	v_add_f64 v[106:107], v[106:107], v[128:129]
	v_add_f64 v[88:89], v[88:89], v[155:156]
	v_add_f64 v[155:156], v[122:123], -v[155:156]
	v_add_f64 v[108:109], v[114:115], v[173:174]
	v_fma_f64 v[114:115], v[130:131], s[16:17], v[124:125]
	v_fma_f64 v[124:125], v[171:172], s[6:7], v[165:166]
	v_mov_b32_e32 v165, 0x4b0
	v_add_f64 v[90:91], v[88:89], v[122:123]
	v_add_f64 v[88:89], v[106:107], v[157:158]
	v_add_f64 v[106:107], v[94:95], -v[92:93]
	v_add_f64 v[122:123], v[128:129], -v[157:158]
	;; [unrolled: 1-line block ×5, first 2 shown]
	v_add_f64 v[104:105], v[104:105], v[155:156]
	v_fma_f64 v[155:156], v[159:160], s[16:17], v[132:133]
	v_fma_f64 v[124:125], v[161:162], s[14:15], v[124:125]
	v_add_f64 v[106:107], v[106:107], v[122:123]
	v_fma_f64 v[122:123], v[161:162], s[6:7], v[120:121]
	v_add_f64 v[102:103], v[94:95], v[128:129]
	v_fma_f64 v[94:95], v[130:131], s[14:15], v[169:170]
	v_fma_f64 v[120:121], v[171:172], s[14:15], v[118:119]
	;; [unrolled: 1-line block ×24, first 2 shown]
	ds_write_b128 v140, v[4:7] offset:48
	ds_write_b128 v140, v[8:11] offset:96
	ds_write_b128 v140, v[12:15] offset:144
	ds_write_b128 v140, v[0:3] offset:192
	ds_write_b128 v139, v[16:19]
	ds_write_b128 v139, v[32:35] offset:48
	ds_write_b128 v139, v[20:23] offset:96
	ds_write_b128 v139, v[24:27] offset:144
	ds_write_b128 v139, v[28:31] offset:192
	ds_write_b128 v142, v[36:39]
	ds_write_b128 v142, v[52:55] offset:48
	ds_write_b128 v142, v[40:43] offset:96
	ds_write_b128 v142, v[44:47] offset:144
	ds_write_b128 v142, v[48:51] offset:192
	ds_write_b128 v141, v[56:59]
	ds_write_b128 v141, v[72:75] offset:48
	ds_write_b128 v141, v[60:63] offset:96
	ds_write_b128 v141, v[64:67] offset:144
	ds_write_b128 v141, v[68:71] offset:192
	ds_write_b128 v144, v[84:87]
	ds_write_b128 v144, v[76:79] offset:48
	ds_write_b128 v144, v[92:95] offset:96
	ds_write_b128 v144, v[110:113] offset:144
	ds_write_b128 v144, v[80:83] offset:192
	ds_write_b128 v138, v[88:91]
	ds_write_b128 v138, v[118:121] offset:48
	ds_write_b128 v138, v[114:117] offset:96
	;; [unrolled: 1-line block ×4, first 2 shown]
	s_waitcnt lgkmcnt(0)
	s_barrier
	buffer_gl0_inv
	s_clause 0x2
	global_load_dwordx4 v[0:3], v135, s[12:13] offset:192
	global_load_dwordx4 v[4:7], v135, s[12:13] offset:208
	;; [unrolled: 1-line block ×3, first 2 shown]
	v_mul_lo_u16 v12, 0x89, v151
	v_mov_b32_e32 v72, 0x8889
	v_lshrrev_b16 v156, 11, v12
	v_mul_u32_u24_sdwa v29, v148, v72 dst_sel:DWORD dst_unused:UNUSED_PAD src0_sel:WORD_0 src1_sel:DWORD
	v_mul_u32_u24_sdwa v45, v147, v72 dst_sel:DWORD dst_unused:UNUSED_PAD src0_sel:WORD_0 src1_sel:DWORD
	;; [unrolled: 1-line block ×4, first 2 shown]
	v_mul_lo_u16 v12, v156, 15
	v_lshrrev_b32_e32 v157, 19, v29
	v_lshrrev_b32_e32 v159, 19, v45
	;; [unrolled: 1-line block ×4, first 2 shown]
	v_sub_nc_u16 v154, v149, v12
	global_load_dwordx4 v[12:15], v135, s[12:13] offset:240
	v_mul_lo_u16 v29, v157, 15
	v_mul_lo_u16 v45, v159, 15
	v_mul_lo_u16 v61, v161, 15
	v_lshlrev_b32_sdwa v28, v134, v154 dst_sel:DWORD dst_unused:UNUSED_PAD src0_sel:DWORD src1_sel:BYTE_0
	s_clause 0x1
	global_load_dwordx4 v[16:19], v28, s[12:13] offset:192
	global_load_dwordx4 v[20:23], v28, s[12:13] offset:208
	v_sub_nc_u16 v158, v148, v29
	s_clause 0x1
	global_load_dwordx4 v[24:27], v28, s[12:13] offset:224
	global_load_dwordx4 v[28:31], v28, s[12:13] offset:240
	v_sub_nc_u16 v160, v147, v45
	v_sub_nc_u16 v162, v146, v61
	v_lshlrev_b32_sdwa v44, v134, v158 dst_sel:DWORD dst_unused:UNUSED_PAD src0_sel:DWORD src1_sel:WORD_0
	s_clause 0x2
	global_load_dwordx4 v[32:35], v44, s[12:13] offset:192
	global_load_dwordx4 v[36:39], v44, s[12:13] offset:208
	;; [unrolled: 1-line block ×3, first 2 shown]
	v_lshlrev_b32_sdwa v60, v134, v160 dst_sel:DWORD dst_unused:UNUSED_PAD src0_sel:DWORD src1_sel:WORD_0
	s_clause 0x3
	global_load_dwordx4 v[44:47], v44, s[12:13] offset:240
	global_load_dwordx4 v[48:51], v60, s[12:13] offset:192
	;; [unrolled: 1-line block ×4, first 2 shown]
	v_lshlrev_b32_sdwa v76, v134, v162 dst_sel:DWORD dst_unused:UNUSED_PAD src0_sel:DWORD src1_sel:WORD_0
	s_clause 0x3
	global_load_dwordx4 v[60:63], v60, s[12:13] offset:240
	global_load_dwordx4 v[64:67], v76, s[12:13] offset:192
	global_load_dwordx4 v[68:71], v76, s[12:13] offset:208
	global_load_dwordx4 v[72:75], v76, s[12:13] offset:224
	v_mul_lo_u16 v77, v163, 15
	v_sub_nc_u16 v164, v97, v77
	global_load_dwordx4 v[76:79], v76, s[12:13] offset:240
	v_lshlrev_b32_sdwa v110, v134, v164 dst_sel:DWORD dst_unused:UNUSED_PAD src0_sel:DWORD src1_sel:WORD_0
	s_clause 0x2
	global_load_dwordx4 v[80:83], v110, s[12:13] offset:192
	global_load_dwordx4 v[84:87], v110, s[12:13] offset:208
	;; [unrolled: 1-line block ×3, first 2 shown]
	ds_read_b128 v[88:91], v152 offset:12000
	ds_read_b128 v[92:95], v152 offset:24000
	;; [unrolled: 1-line block ×3, first 2 shown]
	global_load_dwordx4 v[126:129], v110, s[12:13] offset:240
	ds_read_b128 v[110:113], v152 offset:48000
	ds_read_b128 v[114:117], v152 offset:14000
	s_waitcnt vmcnt(23) lgkmcnt(4)
	v_mul_f64 v[118:119], v[90:91], v[2:3]
	v_mul_f64 v[2:3], v[88:89], v[2:3]
	s_waitcnt vmcnt(21) lgkmcnt(2)
	v_mul_f64 v[122:123], v[108:109], v[10:11]
	v_mul_f64 v[10:11], v[106:107], v[10:11]
	;; [unrolled: 1-line block ×4, first 2 shown]
	v_fma_f64 v[124:125], v[88:89], v[0:1], v[118:119]
	v_fma_f64 v[130:131], v[90:91], v[0:1], -v[2:3]
	v_fma_f64 v[138:139], v[106:107], v[8:9], v[122:123]
	v_fma_f64 v[140:141], v[108:109], v[8:9], -v[10:11]
	ds_read_b128 v[8:11], v152 offset:50000
	s_waitcnt vmcnt(20) lgkmcnt(2)
	v_mul_f64 v[88:89], v[112:113], v[14:15]
	v_mul_f64 v[14:15], v[110:111], v[14:15]
	ds_read_b128 v[0:3], v152 offset:26000
	v_fma_f64 v[132:133], v[92:93], v[4:5], v[120:121]
	v_fma_f64 v[134:135], v[94:95], v[4:5], -v[6:7]
	ds_read_b128 v[4:7], v152 offset:38000
	v_fma_f64 v[142:143], v[110:111], v[12:13], v[88:89]
	v_fma_f64 v[144:145], v[112:113], v[12:13], -v[14:15]
	ds_read_b128 v[12:15], v152 offset:16000
	s_waitcnt vmcnt(19) lgkmcnt(4)
	v_mul_f64 v[90:91], v[116:117], v[18:19]
	v_mul_f64 v[18:19], v[114:115], v[18:19]
	v_fma_f64 v[166:167], v[114:115], v[16:17], v[90:91]
	v_fma_f64 v[168:169], v[116:117], v[16:17], -v[18:19]
	ds_read_b128 v[16:19], v152 offset:28000
	s_waitcnt vmcnt(18) lgkmcnt(3)
	v_mul_f64 v[92:93], v[2:3], v[22:23]
	v_mul_f64 v[22:23], v[0:1], v[22:23]
	s_waitcnt vmcnt(16)
	v_mul_f64 v[90:91], v[10:11], v[30:31]
	v_fma_f64 v[170:171], v[0:1], v[20:21], v[92:93]
	v_fma_f64 v[172:173], v[2:3], v[20:21], -v[22:23]
	ds_read_b128 v[0:3], v152 offset:40000
	s_waitcnt lgkmcnt(3)
	v_mul_f64 v[88:89], v[6:7], v[26:27]
	v_mul_f64 v[26:27], v[4:5], v[26:27]
	;; [unrolled: 1-line block ×3, first 2 shown]
	s_waitcnt vmcnt(15) lgkmcnt(2)
	v_mul_f64 v[22:23], v[14:15], v[34:35]
	v_fma_f64 v[174:175], v[8:9], v[28:29], v[90:91]
	v_fma_f64 v[30:31], v[4:5], v[24:25], v[88:89]
	v_fma_f64 v[24:25], v[6:7], v[24:25], -v[26:27]
	v_mul_f64 v[26:27], v[12:13], v[34:35]
	s_waitcnt vmcnt(14) lgkmcnt(1)
	v_mul_f64 v[34:35], v[18:19], v[38:39]
	v_fma_f64 v[28:29], v[10:11], v[28:29], -v[20:21]
	v_mul_f64 v[20:21], v[16:17], v[38:39]
	s_waitcnt vmcnt(13) lgkmcnt(0)
	v_mul_f64 v[38:39], v[2:3], v[42:43]
	v_fma_f64 v[176:177], v[12:13], v[32:33], v[22:23]
	v_mul_f64 v[22:23], v[0:1], v[42:43]
	ds_read_b128 v[4:7], v152 offset:52000
	ds_read_b128 v[8:11], v152 offset:18000
	v_fma_f64 v[178:179], v[14:15], v[32:33], -v[26:27]
	v_fma_f64 v[42:43], v[16:17], v[36:37], v[34:35]
	ds_read_b128 v[12:15], v152 offset:30000
	v_fma_f64 v[180:181], v[18:19], v[36:37], -v[20:21]
	ds_read_b128 v[16:19], v152 offset:42000
	s_waitcnt vmcnt(12) lgkmcnt(3)
	v_mul_f64 v[26:27], v[6:7], v[46:47]
	v_mul_f64 v[20:21], v[4:5], v[46:47]
	v_fma_f64 v[46:47], v[0:1], v[40:41], v[38:39]
	v_fma_f64 v[40:41], v[2:3], v[40:41], -v[22:23]
	ds_read_b128 v[0:3], v152 offset:54000
	s_waitcnt vmcnt(11) lgkmcnt(3)
	v_mul_f64 v[22:23], v[8:9], v[50:51]
	v_mul_f64 v[32:33], v[10:11], v[50:51]
	v_add_f64 v[38:39], v[138:139], -v[142:143]
	v_fma_f64 v[50:51], v[4:5], v[44:45], v[26:27]
	v_fma_f64 v[44:45], v[6:7], v[44:45], -v[20:21]
	ds_read_b128 v[4:7], v152 offset:20000
	s_waitcnt vmcnt(10) lgkmcnt(3)
	v_mul_f64 v[34:35], v[14:15], v[54:55]
	v_mul_f64 v[20:21], v[12:13], v[54:55]
	v_fma_f64 v[184:185], v[10:11], v[48:49], -v[22:23]
	s_waitcnt vmcnt(9) lgkmcnt(2)
	v_mul_f64 v[22:23], v[16:17], v[58:59]
	v_mul_f64 v[26:27], v[18:19], v[58:59]
	v_fma_f64 v[182:183], v[8:9], v[48:49], v[32:33]
	s_waitcnt vmcnt(8) lgkmcnt(1)
	v_mul_f64 v[32:33], v[2:3], v[62:63]
	ds_read_b128 v[8:11], v152 offset:32000
	v_add_f64 v[48:49], v[132:133], -v[138:139]
	v_fma_f64 v[186:187], v[12:13], v[52:53], v[34:35]
	v_fma_f64 v[188:189], v[14:15], v[52:53], -v[20:21]
	v_mul_f64 v[20:21], v[0:1], v[62:63]
	s_waitcnt vmcnt(7) lgkmcnt(1)
	v_mul_f64 v[34:35], v[6:7], v[66:67]
	v_fma_f64 v[190:191], v[18:19], v[56:57], -v[22:23]
	v_mul_f64 v[22:23], v[4:5], v[66:67]
	ds_read_b128 v[12:15], v152 offset:44000
	v_fma_f64 v[62:63], v[16:17], v[56:57], v[26:27]
	s_waitcnt vmcnt(6) lgkmcnt(1)
	v_mul_f64 v[26:27], v[10:11], v[70:71]
	v_fma_f64 v[66:67], v[0:1], v[60:61], v[32:33]
	ds_read_b128 v[16:19], v152 offset:56000
	v_add_f64 v[52:53], v[134:135], -v[130:131]
	v_fma_f64 v[60:61], v[2:3], v[60:61], -v[20:21]
	v_mul_f64 v[20:21], v[8:9], v[70:71]
	v_fma_f64 v[118:119], v[4:5], v[64:65], v[34:35]
	v_fma_f64 v[116:117], v[6:7], v[64:65], -v[22:23]
	ds_read_b128 v[4:7], v152 offset:34000
	s_waitcnt vmcnt(5) lgkmcnt(2)
	v_mul_f64 v[32:33], v[14:15], v[74:75]
	v_mul_f64 v[22:23], v[12:13], v[74:75]
	ds_read_b128 v[0:3], v152 offset:22000
	v_fma_f64 v[122:123], v[8:9], v[68:69], v[26:27]
	v_add_f64 v[74:75], v[166:167], -v[174:175]
	v_fma_f64 v[120:121], v[10:11], v[68:69], -v[20:21]
	ds_read_b128 v[8:11], v152 offset:46000
	s_waitcnt vmcnt(4) lgkmcnt(3)
	v_mul_f64 v[34:35], v[18:19], v[78:79]
	v_mul_f64 v[20:21], v[16:17], v[78:79]
	v_fma_f64 v[106:107], v[12:13], v[72:73], v[32:33]
	v_fma_f64 v[88:89], v[14:15], v[72:73], -v[22:23]
	ds_read_b128 v[12:15], v152
	s_waitcnt vmcnt(3) lgkmcnt(2)
	v_mul_f64 v[26:27], v[2:3], v[82:83]
	v_mul_f64 v[22:23], v[0:1], v[82:83]
	s_waitcnt vmcnt(2)
	v_mul_f64 v[32:33], v[6:7], v[86:87]
	v_mul_f64 v[36:37], v[4:5], v[86:87]
	v_add_f64 v[78:79], v[42:43], -v[46:47]
	v_add_f64 v[82:83], v[60:61], -v[190:191]
	v_fma_f64 v[112:113], v[16:17], v[76:77], v[34:35]
	s_waitcnt vmcnt(1) lgkmcnt(1)
	v_mul_f64 v[16:17], v[10:11], v[104:105]
	v_fma_f64 v[110:111], v[18:19], v[76:77], -v[20:21]
	v_add_f64 v[20:21], v[132:133], v[138:139]
	v_mul_f64 v[18:19], v[8:9], v[104:105]
	v_fma_f64 v[92:93], v[0:1], v[80:81], v[26:27]
	v_add_f64 v[0:1], v[134:135], v[140:141]
	v_fma_f64 v[90:91], v[2:3], v[80:81], -v[22:23]
	v_fma_f64 v[94:95], v[4:5], v[84:85], v[32:33]
	v_fma_f64 v[108:109], v[6:7], v[84:85], -v[36:37]
	v_add_f64 v[2:3], v[124:125], v[142:143]
	v_add_f64 v[4:5], v[130:131], v[144:145]
	s_waitcnt lgkmcnt(0)
	v_add_f64 v[6:7], v[12:13], v[124:125]
	v_add_f64 v[22:23], v[14:15], v[130:131]
	v_add_f64 v[26:27], v[144:145], -v[140:141]
	v_add_f64 v[32:33], v[124:125], -v[142:143]
	v_add_f64 v[36:37], v[132:133], -v[124:125]
	v_add_f64 v[76:77], v[40:41], -v[44:45]
	v_add_f64 v[80:81], v[46:47], -v[50:51]
	v_fma_f64 v[104:105], v[8:9], v[102:103], v[16:17]
	v_add_f64 v[16:17], v[130:131], -v[134:135]
	v_fma_f64 v[20:21], v[20:21], -0.5, v[12:13]
	v_fma_f64 v[114:115], v[10:11], v[102:103], -v[18:19]
	v_add_f64 v[8:9], v[124:125], -v[132:133]
	v_fma_f64 v[34:35], v[0:1], -0.5, v[14:15]
	v_add_f64 v[10:11], v[142:143], -v[138:139]
	v_add_f64 v[18:19], v[130:131], -v[144:145]
	;; [unrolled: 1-line block ×3, first 2 shown]
	v_fma_f64 v[12:13], v[2:3], -0.5, v[12:13]
	v_fma_f64 v[4:5], v[4:5], -0.5, v[14:15]
	v_add_f64 v[6:7], v[6:7], v[132:133]
	v_add_f64 v[14:15], v[22:23], v[134:135]
	v_add_f64 v[22:23], v[134:135], -v[140:141]
	ds_read_b128 v[0:3], v152 offset:58000
	v_add_f64 v[54:55], v[36:37], v[38:39]
	v_add_f64 v[36:37], v[140:141], -v[144:145]
	v_add_f64 v[132:133], v[66:67], -v[62:63]
	v_add_f64 v[102:103], v[190:191], -v[60:61]
	v_add_f64 v[134:135], v[122:123], -v[106:107]
	v_add_f64 v[26:27], v[16:17], v[26:27]
	v_fma_f64 v[16:17], v[32:33], s[8:9], v[34:35]
	v_add_f64 v[8:9], v[8:9], v[10:11]
	v_fma_f64 v[10:11], v[18:19], s[6:7], v[20:21]
	v_fma_f64 v[20:21], v[18:19], s[8:9], v[20:21]
	v_fma_f64 v[34:35], v[32:33], s[6:7], v[34:35]
	v_fma_f64 v[56:57], v[48:49], s[6:7], v[4:5]
	v_add_f64 v[6:7], v[6:7], v[138:139]
	v_add_f64 v[14:15], v[14:15], v[140:141]
	v_fma_f64 v[38:39], v[22:23], s[8:9], v[12:13]
	v_fma_f64 v[12:13], v[22:23], s[6:7], v[12:13]
	;; [unrolled: 1-line block ×3, first 2 shown]
	s_waitcnt vmcnt(0) lgkmcnt(0)
	v_mul_f64 v[58:59], v[2:3], v[128:129]
	v_add_f64 v[52:53], v[52:53], v[36:37]
	v_fma_f64 v[68:69], v[48:49], s[16:17], v[16:17]
	v_mul_u32_u24_sdwa v16, v136, v165 dst_sel:DWORD dst_unused:UNUSED_PAD src0_sel:WORD_0 src1_sel:DWORD
	v_lshlrev_b32_sdwa v17, v150, v137 dst_sel:DWORD dst_unused:UNUSED_PAD src0_sel:DWORD src1_sel:BYTE_0
	v_fma_f64 v[10:11], v[22:23], s[14:15], v[10:11]
	v_fma_f64 v[64:65], v[22:23], s[16:17], v[20:21]
	;; [unrolled: 1-line block ×3, first 2 shown]
	ds_read_b128 v[84:87], v152 offset:10000
	ds_read_b128 v[20:23], v152 offset:2000
	v_add3_u32 v155, 0, v16, v17
	v_fma_f64 v[70:71], v[18:19], s[14:15], v[38:39]
	v_fma_f64 v[12:13], v[18:19], s[16:17], v[12:13]
	;; [unrolled: 1-line block ×3, first 2 shown]
	v_add_f64 v[16:17], v[6:7], v[142:143]
	v_add_f64 v[18:19], v[14:15], v[144:145]
	v_fma_f64 v[34:35], v[48:49], s[14:15], v[34:35]
	v_mul_f64 v[48:49], v[0:1], v[128:129]
	v_fma_f64 v[124:125], v[0:1], v[126:127], v[58:59]
	ds_read_b128 v[36:39], v152 offset:4000
	ds_read_b128 v[56:59], v152 offset:6000
	;; [unrolled: 1-line block ×3, first 2 shown]
	s_waitcnt lgkmcnt(0)
	s_barrier
	buffer_gl0_inv
	v_add_f64 v[128:129], v[182:183], -v[66:67]
	v_fma_f64 v[6:7], v[26:27], s[4:5], v[68:69]
	v_add_f64 v[68:69], v[170:171], -v[30:31]
	v_fma_f64 v[4:5], v[8:9], s[4:5], v[10:11]
	v_fma_f64 v[0:1], v[8:9], s[4:5], v[64:65]
	;; [unrolled: 1-line block ×3, first 2 shown]
	v_add_f64 v[64:65], v[24:25], -v[28:29]
	v_add_f64 v[72:73], v[30:31], -v[174:175]
	v_fma_f64 v[8:9], v[54:55], s[4:5], v[70:71]
	v_fma_f64 v[12:13], v[54:55], s[4:5], v[12:13]
	;; [unrolled: 1-line block ×3, first 2 shown]
	v_add_f64 v[32:33], v[168:169], v[28:29]
	ds_write_b128 v155, v[16:19]
	v_add_f64 v[16:17], v[172:173], v[24:25]
	v_add_f64 v[18:19], v[22:23], v[168:169]
	v_fma_f64 v[126:127], v[2:3], v[126:127], -v[48:49]
	v_fma_f64 v[2:3], v[26:27], s[4:5], v[34:35]
	v_add_f64 v[26:27], v[166:167], v[174:175]
	v_add_f64 v[34:35], v[170:171], v[30:31]
	v_add_f64 v[48:49], v[172:173], -v[24:25]
	v_add_f64 v[52:53], v[168:169], -v[172:173]
	;; [unrolled: 1-line block ×4, first 2 shown]
	v_add_f64 v[140:141], v[144:145], v[116:117]
	v_fma_f64 v[32:33], v[32:33], -0.5, v[22:23]
	v_fma_f64 v[22:23], v[16:17], -0.5, v[22:23]
	v_add_f64 v[16:17], v[20:21], v[166:167]
	v_add_f64 v[18:19], v[18:19], v[172:173]
	v_fma_f64 v[26:27], v[26:27], -0.5, v[20:21]
	v_fma_f64 v[34:35], v[34:35], -0.5, v[20:21]
	v_add_f64 v[20:21], v[172:173], -v[168:169]
	v_add_f64 v[168:169], v[90:91], v[126:127]
	v_add_f64 v[172:173], v[86:87], v[90:91]
	;; [unrolled: 1-line block ×4, first 2 shown]
	v_add_f64 v[24:25], v[28:29], -v[24:25]
	v_add_f64 v[64:65], v[20:21], v[64:65]
	v_fma_f64 v[20:21], v[48:49], s[8:9], v[26:27]
	v_fma_f64 v[168:169], v[168:169], -0.5, v[86:87]
	v_add_f64 v[16:17], v[16:17], v[30:31]
	v_add_f64 v[30:31], v[174:175], -v[30:31]
	v_add_f64 v[52:53], v[52:53], v[24:25]
	v_fma_f64 v[24:25], v[48:49], s[6:7], v[26:27]
	v_add_f64 v[18:19], v[18:19], v[28:29]
	v_add_f64 v[28:29], v[170:171], -v[166:167]
	v_fma_f64 v[26:27], v[54:55], s[6:7], v[34:35]
	v_fma_f64 v[34:35], v[54:55], s[8:9], v[34:35]
	;; [unrolled: 1-line block ×3, first 2 shown]
	v_add_f64 v[166:167], v[92:93], v[124:125]
	v_add_f64 v[170:171], v[84:85], v[92:93]
	;; [unrolled: 1-line block ×4, first 2 shown]
	v_fma_f64 v[70:71], v[74:75], s[8:9], v[22:23]
	v_fma_f64 v[24:25], v[54:55], s[16:17], v[24:25]
	;; [unrolled: 1-line block ×5, first 2 shown]
	v_add_f64 v[28:29], v[28:29], v[72:73]
	v_fma_f64 v[72:73], v[48:49], s[14:15], v[26:27]
	v_fma_f64 v[48:49], v[48:49], s[16:17], v[34:35]
	v_fma_f64 v[166:167], v[166:167], -0.5, v[84:85]
	v_add_f64 v[174:175], v[126:127], -v[114:115]
	v_fma_f64 v[34:35], v[68:69], s[16:17], v[70:71]
	v_add_f64 v[70:71], v[42:43], v[46:47]
	v_fma_f64 v[54:55], v[74:75], s[16:17], v[54:55]
	v_fma_f64 v[32:33], v[74:75], s[14:15], v[32:33]
	;; [unrolled: 1-line block ×6, first 2 shown]
	v_add_f64 v[48:49], v[180:181], v[40:41]
	v_add_f64 v[74:75], v[178:179], -v[44:45]
	v_fma_f64 v[34:35], v[52:53], s[4:5], v[34:35]
	v_fma_f64 v[22:23], v[64:65], s[4:5], v[54:55]
	v_add_f64 v[54:55], v[176:177], v[50:51]
	v_fma_f64 v[26:27], v[64:65], s[4:5], v[32:33]
	v_add_f64 v[64:65], v[178:179], v[44:45]
	v_fma_f64 v[32:33], v[30:31], s[4:5], v[72:73]
	v_fma_f64 v[30:31], v[52:53], s[4:5], v[68:69]
	v_add_f64 v[52:53], v[38:39], v[178:179]
	v_fma_f64 v[68:69], v[70:71], -0.5, v[36:37]
	v_fma_f64 v[48:49], v[48:49], -0.5, v[38:39]
	v_add_f64 v[70:71], v[180:181], -v[40:41]
	v_add_f64 v[72:73], v[178:179], -v[180:181]
	v_fma_f64 v[54:55], v[54:55], -0.5, v[36:37]
	v_add_f64 v[36:37], v[36:37], v[176:177]
	v_fma_f64 v[64:65], v[64:65], -0.5, v[38:39]
	v_add_f64 v[38:39], v[52:53], v[180:181]
	v_add_f64 v[52:53], v[180:181], -v[178:179]
	v_add_f64 v[178:179], v[92:93], -v[124:125]
	v_add_f64 v[36:37], v[36:37], v[42:43]
	v_add_f64 v[38:39], v[38:39], v[40:41]
	v_add_f64 v[40:41], v[44:45], -v[40:41]
	v_add_f64 v[52:53], v[52:53], v[76:77]
	v_add_f64 v[36:37], v[36:37], v[46:47]
	v_add_f64 v[46:47], v[50:51], -v[46:47]
	v_add_f64 v[38:39], v[38:39], v[44:45]
	v_add_f64 v[44:45], v[42:43], -v[176:177]
	v_add_f64 v[42:43], v[176:177], -v[42:43]
	v_add_f64 v[72:73], v[72:73], v[40:41]
	v_fma_f64 v[40:41], v[70:71], s[8:9], v[54:55]
	v_add_f64 v[36:37], v[36:37], v[50:51]
	v_add_f64 v[50:51], v[176:177], -v[50:51]
	v_add_f64 v[176:177], v[114:115], -v[126:127]
	v_add_f64 v[44:45], v[44:45], v[80:81]
	v_add_f64 v[76:77], v[42:43], v[46:47]
	v_fma_f64 v[42:43], v[70:71], s[6:7], v[54:55]
	v_fma_f64 v[46:47], v[74:75], s[6:7], v[68:69]
	;; [unrolled: 1-line block ×4, first 2 shown]
	v_add_f64 v[80:81], v[188:189], -v[190:191]
	v_fma_f64 v[68:69], v[74:75], s[16:17], v[42:43]
	v_fma_f64 v[42:43], v[78:79], s[6:7], v[64:65]
	v_fma_f64 v[64:65], v[78:79], s[8:9], v[64:65]
	v_fma_f64 v[74:75], v[50:51], s[8:9], v[48:49]
	v_fma_f64 v[48:49], v[50:51], s[6:7], v[48:49]
	v_fma_f64 v[40:41], v[44:45], s[4:5], v[40:41]
	v_fma_f64 v[44:45], v[44:45], s[4:5], v[68:69]
	v_fma_f64 v[42:43], v[50:51], s[16:17], v[42:43]
	v_fma_f64 v[50:51], v[50:51], s[14:15], v[64:65]
	v_fma_f64 v[64:65], v[70:71], s[14:15], v[46:47]
	v_fma_f64 v[70:71], v[70:71], s[16:17], v[54:55]
	v_fma_f64 v[54:55], v[78:79], s[16:17], v[74:75]
	v_fma_f64 v[74:75], v[78:79], s[14:15], v[48:49]
	v_add_f64 v[78:79], v[186:187], v[62:63]
	v_add_f64 v[68:69], v[188:189], v[190:191]
	v_fma_f64 v[42:43], v[52:53], s[4:5], v[42:43]
	v_fma_f64 v[46:47], v[52:53], s[4:5], v[50:51]
	;; [unrolled: 1-line block ×3, first 2 shown]
	v_add_f64 v[64:65], v[182:183], v[66:67]
	v_fma_f64 v[54:55], v[72:73], s[4:5], v[54:55]
	v_fma_f64 v[50:51], v[72:73], s[4:5], v[74:75]
	v_fma_f64 v[74:75], v[78:79], -0.5, v[56:57]
	v_fma_f64 v[48:49], v[76:77], s[4:5], v[70:71]
	v_add_f64 v[70:71], v[184:185], v[60:61]
	v_add_f64 v[72:73], v[58:59], v[184:185]
	v_fma_f64 v[68:69], v[68:69], -0.5, v[58:59]
	v_add_f64 v[76:77], v[184:185], -v[60:61]
	v_add_f64 v[78:79], v[188:189], -v[184:185]
	v_fma_f64 v[64:65], v[64:65], -0.5, v[56:57]
	v_add_f64 v[56:57], v[56:57], v[182:183]
	v_fma_f64 v[70:71], v[70:71], -0.5, v[58:59]
	v_add_f64 v[58:59], v[72:73], v[188:189]
	v_add_f64 v[72:73], v[184:185], -v[188:189]
	v_add_f64 v[78:79], v[78:79], v[102:103]
	v_fma_f64 v[102:103], v[80:81], s[8:9], v[64:65]
	v_add_f64 v[56:57], v[56:57], v[186:187]
	v_fma_f64 v[64:65], v[80:81], s[6:7], v[64:65]
	v_add_f64 v[58:59], v[58:59], v[190:191]
	v_add_f64 v[72:73], v[72:73], v[82:83]
	;; [unrolled: 1-line block ×4, first 2 shown]
	v_add_f64 v[60:61], v[182:183], -v[186:187]
	v_add_f64 v[56:57], v[56:57], v[66:67]
	v_add_f64 v[66:67], v[62:63], -v[66:67]
	v_add_f64 v[62:63], v[186:187], -v[62:63]
	v_add_f64 v[60:61], v[60:61], v[132:133]
	v_add_f64 v[132:133], v[120:121], -v[88:89]
	v_add_f64 v[82:83], v[130:131], v[66:67]
	v_fma_f64 v[66:67], v[76:77], s[6:7], v[74:75]
	v_fma_f64 v[74:75], v[76:77], s[8:9], v[74:75]
	;; [unrolled: 1-line block ×15, first 2 shown]
	v_add_f64 v[130:131], v[112:113], -v[106:107]
	v_fma_f64 v[60:61], v[60:61], s[4:5], v[74:75]
	v_fma_f64 v[66:67], v[72:73], s[4:5], v[80:81]
	v_add_f64 v[80:81], v[118:119], -v[122:123]
	v_fma_f64 v[62:63], v[72:73], s[4:5], v[62:63]
	v_fma_f64 v[68:69], v[82:83], s[4:5], v[68:69]
	;; [unrolled: 1-line block ×3, first 2 shown]
	v_add_f64 v[82:83], v[120:121], v[88:89]
	v_fma_f64 v[70:71], v[78:79], s[4:5], v[102:103]
	v_fma_f64 v[74:75], v[78:79], s[4:5], v[128:129]
	v_add_f64 v[78:79], v[122:123], v[106:107]
	v_add_f64 v[102:103], v[116:117], -v[120:121]
	v_add_f64 v[76:77], v[110:111], -v[88:89]
	v_add_f64 v[128:129], v[116:117], -v[110:111]
	v_add_f64 v[80:81], v[80:81], v[130:131]
	v_add_f64 v[130:131], v[118:119], -v[112:113]
	v_fma_f64 v[82:83], v[82:83], -0.5, v[144:145]
	v_fma_f64 v[136:137], v[78:79], -0.5, v[142:143]
	v_add_f64 v[102:103], v[102:103], v[76:77]
	v_fma_f64 v[78:79], v[130:131], s[8:9], v[82:83]
	v_fma_f64 v[82:83], v[130:131], s[6:7], v[82:83]
	;; [unrolled: 1-line block ×10, first 2 shown]
	v_add_f64 v[102:103], v[118:119], v[112:113]
	v_fma_f64 v[76:77], v[80:81], s[4:5], v[76:77]
	v_fma_f64 v[80:81], v[80:81], s[4:5], v[136:137]
	v_fma_f64 v[136:137], v[102:103], -0.5, v[142:143]
	v_add_f64 v[142:143], v[142:143], v[118:119]
	v_add_f64 v[102:103], v[116:117], v[110:111]
	v_add_f64 v[118:119], v[122:123], -v[118:119]
	v_add_f64 v[116:117], v[120:121], -v[116:117]
	v_add_f64 v[120:121], v[140:141], v[120:121]
	v_add_f64 v[140:141], v[94:95], v[104:105]
	;; [unrolled: 1-line block ×4, first 2 shown]
	v_fma_f64 v[138:139], v[102:103], -0.5, v[144:145]
	v_add_nc_u32_e32 v102, 0xffffffb5, v96
	v_mov_b32_e32 v103, 0
	v_fma_f64 v[140:141], v[140:141], -0.5, v[84:85]
	v_cndmask_b32_e64 v153, v102, v96, s0
	v_mul_i32_i24_e32 v102, 9, v153
	v_lshlrev_b64 v[144:145], 4, v[102:103]
	v_mul_u32_u24_sdwa v102, v156, v165 dst_sel:DWORD dst_unused:UNUSED_PAD src0_sel:WORD_0 src1_sel:DWORD
	v_add_f64 v[84:85], v[122:123], v[106:107]
	v_fma_f64 v[142:143], v[142:143], -0.5, v[86:87]
	v_add_f64 v[86:87], v[120:121], v[88:89]
	v_add_f64 v[106:107], v[106:107], -v[112:113]
	v_fma_f64 v[120:121], v[132:133], s[8:9], v[136:137]
	v_fma_f64 v[122:123], v[132:133], s[6:7], v[136:137]
	v_fma_f64 v[132:133], v[134:135], s[6:7], v[138:139]
	v_fma_f64 v[134:135], v[134:135], s[8:9], v[138:139]
	v_add_f64 v[136:137], v[90:91], -v[108:109]
	v_add_f64 v[138:139], v[90:91], -v[126:127]
	v_add_co_u32 v144, s0, s12, v144
	v_add_co_ci_u32_e64 v145, s0, s13, v145, s0
	v_cmp_lt_u32_e64 s0, 0x4a, v96
	v_add_f64 v[84:85], v[84:85], v[112:113]
	v_add_f64 v[112:113], v[170:171], v[94:95]
	;; [unrolled: 1-line block ×3, first 2 shown]
	v_add_f64 v[110:111], v[88:89], -v[110:111]
	v_add_f64 v[88:89], v[172:173], v[108:109]
	v_add_f64 v[170:171], v[108:109], -v[90:91]
	v_add_f64 v[172:173], v[108:109], -v[114:115]
	;; [unrolled: 1-line block ×5, first 2 shown]
	v_add_f64 v[112:113], v[112:113], v[104:105]
	v_add_f64 v[88:89], v[88:89], v[114:115]
	;; [unrolled: 1-line block ×4, first 2 shown]
	v_fma_f64 v[116:117], v[128:129], s[16:17], v[122:123]
	v_fma_f64 v[136:137], v[130:131], s[16:17], v[132:133]
	v_add_f64 v[90:91], v[88:89], v[126:127]
	v_add_f64 v[88:89], v[112:113], v[124:125]
	v_add_f64 v[126:127], v[124:125], -v[104:105]
	v_add_f64 v[124:125], v[104:105], -v[124:125]
	v_add_f64 v[112:113], v[118:119], v[106:107]
	v_fma_f64 v[118:119], v[130:131], s[14:15], v[134:135]
	v_fma_f64 v[130:131], v[172:173], s[6:7], v[166:167]
	;; [unrolled: 1-line block ×3, first 2 shown]
	v_add_f64 v[106:107], v[170:171], v[176:177]
	v_add_f64 v[108:109], v[108:109], v[126:127]
	;; [unrolled: 1-line block ×3, first 2 shown]
	v_fma_f64 v[92:93], v[128:129], s[14:15], v[120:121]
	v_fma_f64 v[120:121], v[138:139], s[6:7], v[140:141]
	;; [unrolled: 1-line block ×18, first 2 shown]
	v_mul_u32_u24_e32 v136, 0x4b0, v157
	v_lshlrev_b32_sdwa v137, v150, v158 dst_sel:DWORD dst_unused:UNUSED_PAD src0_sel:DWORD src1_sel:WORD_0
	v_fma_f64 v[124:125], v[138:139], s[16:17], v[130:131]
	v_fma_f64 v[130:131], v[178:179], s[14:15], v[140:141]
	v_lshlrev_b32_sdwa v138, v150, v160 dst_sel:DWORD dst_unused:UNUSED_PAD src0_sel:DWORD src1_sel:WORD_0
	v_lshlrev_b32_sdwa v139, v150, v162 dst_sel:DWORD dst_unused:UNUSED_PAD src0_sel:DWORD src1_sel:WORD_0
	v_add3_u32 v136, 0, v136, v137
	v_mul_u32_u24_e32 v137, 0x4b0, v159
	v_lshlrev_b32_sdwa v140, v150, v164 dst_sel:DWORD dst_unused:UNUSED_PAD src0_sel:DWORD src1_sel:WORD_0
	v_fma_f64 v[114:115], v[114:115], s[4:5], v[118:119]
	v_fma_f64 v[120:121], v[104:105], s[4:5], v[126:127]
	v_fma_f64 v[122:123], v[106:107], s[4:5], v[134:135]
	v_add3_u32 v137, 0, v137, v138
	v_mul_u32_u24_e32 v138, 0x4b0, v161
	v_add3_u32 v138, 0, v138, v139
	v_mul_u32_u24_e32 v139, 0x4b0, v163
	v_fma_f64 v[118:119], v[110:111], s[4:5], v[132:133]
	v_fma_f64 v[110:111], v[110:111], s[4:5], v[128:129]
	v_add3_u32 v139, 0, v139, v140
	v_lshlrev_b32_sdwa v140, v150, v154 dst_sel:DWORD dst_unused:UNUSED_PAD src0_sel:DWORD src1_sel:BYTE_0
	v_fma_f64 v[104:105], v[104:105], s[4:5], v[124:125]
	v_fma_f64 v[106:107], v[106:107], s[4:5], v[130:131]
	v_add3_u32 v102, 0, v102, v140
	ds_write_b128 v155, v[4:7] offset:240
	ds_write_b128 v155, v[8:11] offset:480
	ds_write_b128 v155, v[12:15] offset:720
	ds_write_b128 v155, v[0:3] offset:960
	ds_write_b128 v102, v[16:19]
	ds_write_b128 v102, v[32:35] offset:240
	ds_write_b128 v102, v[20:23] offset:480
	ds_write_b128 v102, v[24:27] offset:720
	ds_write_b128 v102, v[28:31] offset:960
	ds_write_b128 v136, v[36:39]
	;; [unrolled: 5-line block ×5, first 2 shown]
	ds_write_b128 v139, v[116:119] offset:240
	ds_write_b128 v139, v[120:123] offset:480
	;; [unrolled: 1-line block ×4, first 2 shown]
	s_waitcnt lgkmcnt(0)
	s_barrier
	buffer_gl0_inv
	s_clause 0x6
	global_load_dwordx4 v[28:31], v[144:145], off offset:1152
	global_load_dwordx4 v[32:35], v[144:145], off offset:1168
	;; [unrolled: 1-line block ×7, first 2 shown]
	v_mul_lo_u16 v0, 0xdb, v151
	s_clause 0x1
	global_load_dwordx4 v[20:23], v[144:145], off offset:1264
	global_load_dwordx4 v[24:27], v[144:145], off offset:1280
	v_mov_b32_e32 v72, 9
	v_mov_b32_e32 v56, 0xb4e9
	v_lshrrev_b16 v142, 14, v0
	v_cndmask_b32_e64 v151, 0, 0x2ee0, s0
	v_mul_u32_u24_sdwa v60, v148, v56 dst_sel:DWORD dst_unused:UNUSED_PAD src0_sel:WORD_0 src1_sel:DWORD
	v_mul_lo_u16 v0, 0x4b, v142
	v_lshrrev_b32_e32 v64, 16, v60
	v_sub_nc_u16 v143, v149, v0
	v_sub_nc_u16 v65, v148, v64
	v_mul_u32_u24_sdwa v0, v143, v72 dst_sel:DWORD dst_unused:UNUSED_PAD src0_sel:BYTE_0 src1_sel:DWORD
	v_lshlrev_b32_sdwa v143, v150, v143 dst_sel:DWORD dst_unused:UNUSED_PAD src0_sel:DWORD src1_sel:BYTE_0
	v_lshrrev_b16 v65, 1, v65
	v_lshlrev_b32_e32 v68, 4, v0
	s_clause 0x6
	global_load_dwordx4 v[16:19], v68, s[12:13] offset:1152
	global_load_dwordx4 v[12:15], v68, s[12:13] offset:1168
	;; [unrolled: 1-line block ×7, first 2 shown]
	v_add_nc_u16 v64, v65, v64
	v_lshrrev_b16 v144, 6, v64
	global_load_dwordx4 v[64:67], v68, s[12:13] offset:1264
	v_mul_lo_u16 v69, 0x4b, v144
	v_sub_nc_u16 v145, v148, v69
	global_load_dwordx4 v[68:71], v68, s[12:13] offset:1280
	v_mul_u32_u24_sdwa v72, v145, v72 dst_sel:DWORD dst_unused:UNUSED_PAD src0_sel:WORD_0 src1_sel:DWORD
	v_lshlrev_b32_sdwa v150, v150, v145 dst_sel:DWORD dst_unused:UNUSED_PAD src0_sel:DWORD src1_sel:WORD_0
	v_lshlrev_b32_e32 v102, 4, v72
	s_clause 0x6
	global_load_dwordx4 v[72:75], v102, s[12:13] offset:1152
	global_load_dwordx4 v[76:79], v102, s[12:13] offset:1168
	;; [unrolled: 1-line block ×7, first 2 shown]
	ds_read_b128 v[108:111], v152 offset:6000
	ds_read_b128 v[112:115], v152 offset:12000
	s_clause 0x1
	global_load_dwordx4 v[116:119], v102, s[12:13] offset:1264
	global_load_dwordx4 v[128:131], v102, s[12:13] offset:1280
	ds_read_b128 v[120:123], v152 offset:18000
	ds_read_b128 v[124:127], v152 offset:24000
	v_lshlrev_b32_e32 v102, 4, v153
	v_add3_u32 v153, 0, v151, v102
	v_lshlrev_b32_e32 v102, 2, v96
	s_waitcnt vmcnt(26) lgkmcnt(3)
	v_mul_f64 v[132:133], v[110:111], v[30:31]
	v_mul_f64 v[30:31], v[108:109], v[30:31]
	s_waitcnt vmcnt(25) lgkmcnt(2)
	v_mul_f64 v[134:135], v[114:115], v[34:35]
	v_mul_f64 v[34:35], v[112:113], v[34:35]
	v_fma_f64 v[108:109], v[108:109], v[28:29], v[132:133]
	s_waitcnt vmcnt(24) lgkmcnt(1)
	v_mul_f64 v[132:133], v[122:123], v[38:39]
	v_fma_f64 v[110:111], v[110:111], v[28:29], -v[30:31]
	v_mul_f64 v[38:39], v[120:121], v[38:39]
	ds_read_b128 v[28:31], v152 offset:30000
	v_fma_f64 v[112:113], v[112:113], v[32:33], v[134:135]
	s_waitcnt vmcnt(23) lgkmcnt(1)
	v_mul_f64 v[134:135], v[126:127], v[42:43]
	v_fma_f64 v[114:115], v[114:115], v[32:33], -v[34:35]
	v_mul_f64 v[42:43], v[124:125], v[42:43]
	ds_read_b128 v[32:35], v152 offset:36000
	v_fma_f64 v[120:121], v[120:121], v[36:37], v[132:133]
	s_waitcnt vmcnt(22) lgkmcnt(1)
	v_mul_f64 v[132:133], v[30:31], v[46:47]
	v_mul_f64 v[46:47], v[28:29], v[46:47]
	v_fma_f64 v[122:123], v[122:123], v[36:37], -v[38:39]
	ds_read_b128 v[36:39], v152 offset:42000
	v_fma_f64 v[124:125], v[124:125], v[40:41], v[134:135]
	s_waitcnt vmcnt(21) lgkmcnt(1)
	v_mul_f64 v[134:135], v[34:35], v[50:51]
	v_mul_f64 v[50:51], v[32:33], v[50:51]
	v_fma_f64 v[126:127], v[126:127], v[40:41], -v[42:43]
	ds_read_b128 v[40:43], v152 offset:48000
	v_fma_f64 v[132:133], v[28:29], v[44:45], v[132:133]
	v_fma_f64 v[44:45], v[30:31], v[44:45], -v[46:47]
	ds_read_b128 v[28:31], v152 offset:54000
	s_waitcnt vmcnt(20) lgkmcnt(2)
	v_mul_f64 v[46:47], v[38:39], v[54:55]
	v_mul_f64 v[54:55], v[36:37], v[54:55]
	v_fma_f64 v[134:135], v[32:33], v[48:49], v[134:135]
	v_fma_f64 v[48:49], v[34:35], v[48:49], -v[50:51]
	s_waitcnt vmcnt(19) lgkmcnt(1)
	v_mul_f64 v[50:51], v[42:43], v[22:23]
	v_mul_f64 v[22:23], v[40:41], v[22:23]
	ds_read_b128 v[32:35], v152 offset:8000
	v_fma_f64 v[46:47], v[36:37], v[52:53], v[46:47]
	v_fma_f64 v[52:53], v[38:39], v[52:53], -v[54:55]
	ds_read_b128 v[36:39], v152 offset:14000
	s_waitcnt vmcnt(18) lgkmcnt(2)
	v_mul_f64 v[54:55], v[30:31], v[26:27]
	v_mul_f64 v[26:27], v[28:29], v[26:27]
	v_fma_f64 v[40:41], v[40:41], v[20:21], v[50:51]
	s_waitcnt vmcnt(17) lgkmcnt(1)
	v_mul_f64 v[50:51], v[34:35], v[18:19]
	v_mul_f64 v[136:137], v[32:33], v[18:19]
	v_fma_f64 v[42:43], v[42:43], v[20:21], -v[22:23]
	ds_read_b128 v[18:21], v152 offset:20000
	v_add_f64 v[186:187], v[132:133], v[46:47]
	v_add_f64 v[194:195], v[44:45], v[52:53]
	v_add_f64 v[188:189], v[132:133], -v[46:47]
	v_fma_f64 v[28:29], v[28:29], v[24:25], v[54:55]
	v_fma_f64 v[26:27], v[30:31], v[24:25], -v[26:27]
	ds_read_b128 v[22:25], v152 offset:26000
	s_waitcnt vmcnt(16) lgkmcnt(2)
	v_mul_f64 v[30:31], v[38:39], v[14:15]
	v_mul_f64 v[54:55], v[36:37], v[14:15]
	v_fma_f64 v[32:33], v[32:33], v[16:17], v[50:51]
	v_fma_f64 v[34:35], v[34:35], v[16:17], -v[136:137]
	s_waitcnt vmcnt(15) lgkmcnt(1)
	v_mul_f64 v[50:51], v[20:21], v[10:11]
	v_mul_f64 v[136:137], v[18:19], v[10:11]
	ds_read_b128 v[14:17], v152 offset:32000
	v_add_f64 v[180:181], v[40:41], -v[134:135]
	v_add_f64 v[182:183], v[114:115], -v[42:43]
	;; [unrolled: 1-line block ×7, first 2 shown]
	v_fma_f64 v[30:31], v[36:37], v[12:13], v[30:31]
	v_fma_f64 v[36:37], v[38:39], v[12:13], -v[54:55]
	s_waitcnt vmcnt(14) lgkmcnt(1)
	v_mul_f64 v[38:39], v[24:25], v[6:7]
	v_mul_f64 v[54:55], v[22:23], v[6:7]
	ds_read_b128 v[10:13], v152 offset:38000
	v_fma_f64 v[50:51], v[18:19], v[8:9], v[50:51]
	v_fma_f64 v[136:137], v[20:21], v[8:9], -v[136:137]
	ds_read_b128 v[6:9], v152 offset:44000
	s_waitcnt vmcnt(13) lgkmcnt(2)
	v_mul_f64 v[18:19], v[16:17], v[2:3]
	v_mul_f64 v[20:21], v[14:15], v[2:3]
	v_add_f64 v[200:201], v[26:27], -v[52:53]
	v_fma_f64 v[38:39], v[22:23], v[4:5], v[38:39]
	s_waitcnt vmcnt(12) lgkmcnt(1)
	v_mul_f64 v[22:23], v[12:13], v[58:59]
	v_fma_f64 v[24:25], v[24:25], v[4:5], -v[54:55]
	v_mul_f64 v[54:55], v[10:11], v[58:59]
	ds_read_b128 v[2:5], v152 offset:50000
	v_fma_f64 v[58:59], v[14:15], v[0:1], v[18:19]
	v_fma_f64 v[138:139], v[16:17], v[0:1], -v[20:21]
	ds_read_b128 v[14:17], v152 offset:56000
	s_waitcnt vmcnt(11) lgkmcnt(2)
	v_mul_f64 v[0:1], v[8:9], v[62:63]
	v_mul_f64 v[18:19], v[6:7], v[62:63]
	v_fma_f64 v[62:63], v[10:11], v[56:57], v[22:23]
	s_waitcnt vmcnt(10) lgkmcnt(1)
	v_mul_f64 v[20:21], v[4:5], v[66:67]
	v_mul_f64 v[22:23], v[2:3], v[66:67]
	v_fma_f64 v[54:55], v[12:13], v[56:57], -v[54:55]
	ds_read_b128 v[10:13], v152 offset:10000
	s_waitcnt vmcnt(9) lgkmcnt(1)
	v_mul_f64 v[66:67], v[14:15], v[70:71]
	v_fma_f64 v[56:57], v[6:7], v[60:61], v[0:1]
	v_fma_f64 v[60:61], v[8:9], v[60:61], -v[18:19]
	ds_read_b128 v[6:9], v152 offset:16000
	v_mul_f64 v[18:19], v[16:17], v[70:71]
	v_add_f64 v[140:141], v[38:39], v[62:63]
	v_fma_f64 v[70:71], v[2:3], v[64:65], v[20:21]
	v_fma_f64 v[64:65], v[4:5], v[64:65], -v[22:23]
	s_waitcnt vmcnt(8) lgkmcnt(1)
	v_mul_f64 v[4:5], v[12:13], v[74:75]
	v_mul_f64 v[20:21], v[10:11], v[74:75]
	ds_read_b128 v[0:3], v152 offset:22000
	v_fma_f64 v[66:67], v[16:17], v[68:69], -v[66:67]
	v_add_f64 v[208:209], v[24:25], -v[54:55]
	s_waitcnt vmcnt(7) lgkmcnt(1)
	v_mul_f64 v[22:23], v[6:7], v[78:79]
	v_add_f64 v[210:211], v[58:59], v[56:57]
	v_add_f64 v[212:213], v[58:59], -v[56:57]
	v_fma_f64 v[74:75], v[14:15], v[68:69], v[18:19]
	ds_read_b128 v[14:17], v152 offset:28000
	v_mul_f64 v[18:19], v[8:9], v[78:79]
	v_add_f64 v[218:219], v[138:139], v[60:61]
	v_add_f64 v[220:221], v[138:139], -v[60:61]
	v_add_f64 v[154:155], v[30:31], v[70:71]
	v_add_f64 v[202:203], v[30:31], -v[70:71]
	v_fma_f64 v[68:69], v[10:11], v[72:73], v[4:5]
	v_fma_f64 v[72:73], v[12:13], v[72:73], -v[20:21]
	s_waitcnt vmcnt(6) lgkmcnt(1)
	v_mul_f64 v[20:21], v[2:3], v[82:83]
	v_mul_f64 v[78:79], v[0:1], v[82:83]
	ds_read_b128 v[10:13], v152 offset:34000
	v_add_f64 v[204:205], v[70:71], -v[62:63]
	v_add_f64 v[206:207], v[36:37], -v[64:65]
	v_add_f64 v[222:223], v[136:137], -v[66:67]
	v_add_f64 v[214:215], v[50:51], -v[74:75]
	v_add_f64 v[216:217], v[74:75], -v[56:57]
	v_fma_f64 v[82:83], v[6:7], v[76:77], v[18:19]
	ds_read_b128 v[4:7], v152 offset:40000
	v_fma_f64 v[76:77], v[8:9], v[76:77], -v[22:23]
	s_waitcnt vmcnt(5) lgkmcnt(2)
	v_mul_f64 v[8:9], v[16:17], v[86:87]
	v_mul_f64 v[18:19], v[14:15], v[86:87]
	v_add_f64 v[224:225], v[66:67], -v[60:61]
	v_fma_f64 v[86:87], v[0:1], v[80:81], v[20:21]
	s_waitcnt vmcnt(4) lgkmcnt(1)
	v_mul_f64 v[20:21], v[12:13], v[90:91]
	v_mul_f64 v[22:23], v[10:11], v[90:91]
	v_fma_f64 v[78:79], v[2:3], v[80:81], -v[78:79]
	ds_read_b128 v[0:3], v152 offset:46000
	s_waitcnt vmcnt(3) lgkmcnt(1)
	v_mul_f64 v[90:91], v[4:5], v[94:95]
	v_fma_f64 v[80:81], v[14:15], v[84:85], v[8:9]
	v_fma_f64 v[84:85], v[16:17], v[84:85], -v[18:19]
	v_mul_f64 v[18:19], v[6:7], v[94:95]
	ds_read_b128 v[14:17], v152
	v_fma_f64 v[94:95], v[10:11], v[88:89], v[20:21]
	v_fma_f64 v[88:89], v[12:13], v[88:89], -v[22:23]
	ds_read_b128 v[8:11], v152 offset:52000
	s_waitcnt vmcnt(2) lgkmcnt(2)
	v_mul_f64 v[12:13], v[2:3], v[106:107]
	v_mul_f64 v[20:21], v[0:1], v[106:107]
	v_add_f64 v[22:23], v[110:111], v[122:123]
	v_fma_f64 v[90:91], v[6:7], v[92:93], -v[90:91]
	v_fma_f64 v[106:107], v[4:5], v[92:93], v[18:19]
	v_add_f64 v[18:19], v[108:109], v[120:121]
	v_fma_f64 v[92:93], v[0:1], v[104:105], v[12:13]
	v_fma_f64 v[104:105], v[2:3], v[104:105], -v[20:21]
	ds_read_b128 v[0:3], v152 offset:58000
	s_waitcnt lgkmcnt(2)
	v_add_f64 v[4:5], v[14:15], v[112:113]
	s_waitcnt vmcnt(1) lgkmcnt(1)
	v_mul_f64 v[12:13], v[10:11], v[118:119]
	v_mul_f64 v[20:21], v[8:9], v[118:119]
	v_add_f64 v[6:7], v[16:17], v[114:115]
	v_add_f64 v[22:23], v[22:23], v[44:45]
	;; [unrolled: 1-line block ×4, first 2 shown]
	v_add_f64 v[236:237], v[94:95], -v[92:93]
	v_add_f64 v[242:243], v[88:89], v[104:105]
	v_add_f64 v[4:5], v[4:5], v[124:125]
	v_fma_f64 v[118:119], v[8:9], v[116:117], v[12:13]
	v_fma_f64 v[116:117], v[10:11], v[116:117], -v[20:21]
	s_waitcnt vmcnt(0) lgkmcnt(0)
	v_mul_f64 v[8:9], v[2:3], v[130:131]
	v_mul_f64 v[10:11], v[0:1], v[130:131]
	v_add_f64 v[6:7], v[6:7], v[126:127]
	v_add_f64 v[244:245], v[88:89], -v[104:105]
	v_add_f64 v[12:13], v[18:19], v[46:47]
	v_add_f64 v[18:19], v[22:23], v[52:53]
	v_add_f64 v[4:5], v[4:5], v[134:135]
	v_add_f64 v[226:227], v[82:83], -v[118:119]
	v_add_f64 v[228:229], v[118:119], -v[106:107]
	v_fma_f64 v[130:131], v[0:1], v[128:129], v[8:9]
	v_fma_f64 v[128:129], v[2:3], v[128:129], -v[10:11]
	v_add_f64 v[8:9], v[126:127], v[48:49]
	v_add_f64 v[10:11], v[114:115], v[42:43]
	;; [unrolled: 1-line block ×7, first 2 shown]
	v_add_f64 v[230:231], v[76:77], -v[116:117]
	v_add_f64 v[232:233], v[116:117], -v[90:91]
	v_add_f64 v[4:5], v[4:5], v[40:41]
	v_add_f64 v[240:241], v[130:131], -v[92:93]
	v_add_f64 v[238:239], v[86:87], -v[130:131]
	v_fma_f64 v[160:161], v[8:9], -0.5, v[16:17]
	v_fma_f64 v[162:163], v[10:11], -0.5, v[16:17]
	v_add_f64 v[246:247], v[78:79], -v[128:129]
	v_fma_f64 v[156:157], v[0:1], -0.5, v[14:15]
	v_fma_f64 v[158:159], v[2:3], -0.5, v[14:15]
	ds_read_b128 v[0:3], v152 offset:2000
	v_add_f64 v[6:7], v[6:7], v[42:43]
	v_add_f64 v[14:15], v[72:73], v[78:79]
	v_add_f64 v[42:43], v[48:49], -v[42:43]
	v_add_f64 v[248:249], v[128:129], -v[104:105]
	v_add_f64 v[16:17], v[4:5], v[12:13]
	v_add_f64 v[20:21], v[4:5], -v[12:13]
	v_add_f64 v[4:5], v[24:25], v[54:55]
	v_add_f64 v[12:13], v[80:81], v[106:107]
	s_waitcnt lgkmcnt(0)
	v_fma_f64 v[140:141], v[140:141], -0.5, v[0:1]
	v_fma_f64 v[154:155], v[154:155], -0.5, v[0:1]
	v_add_f64 v[0:1], v[0:1], v[30:31]
	v_add_f64 v[18:19], v[6:7], v[22:23]
	v_add_f64 v[22:23], v[6:7], -v[22:23]
	v_add_f64 v[6:7], v[34:35], v[136:137]
	v_add_f64 v[14:15], v[14:15], v[88:89]
	v_fma_f64 v[164:165], v[4:5], -0.5, v[2:3]
	v_add_f64 v[4:5], v[36:37], v[64:65]
	v_add_f64 v[0:1], v[0:1], v[38:39]
	;; [unrolled: 1-line block ×4, first 2 shown]
	v_add_f64 v[104:105], v[104:105], -v[128:129]
	v_fma_f64 v[166:167], v[4:5], -0.5, v[2:3]
	v_add_f64 v[2:3], v[2:3], v[36:37]
	v_add_f64 v[4:5], v[32:33], v[50:51]
	;; [unrolled: 1-line block ×5, first 2 shown]
	v_add_f64 v[60:61], v[60:61], -v[66:67]
	v_add_f64 v[2:3], v[2:3], v[24:25]
	v_add_f64 v[4:5], v[4:5], v[58:59]
	;; [unrolled: 1-line block ×6, first 2 shown]
	v_add_f64 v[56:57], v[56:57], -v[74:75]
	v_add_f64 v[2:3], v[2:3], v[64:65]
	v_add_f64 v[8:9], v[4:5], v[74:75]
	;; [unrolled: 1-line block ×4, first 2 shown]
	v_add_f64 v[0:1], v[0:1], -v[8:9]
	v_add_f64 v[2:3], v[2:3], -v[10:11]
	ds_read_b128 v[8:11], v152 offset:4000
	s_waitcnt lgkmcnt(0)
	s_barrier
	buffer_gl0_inv
	ds_write_b128 v153, v[16:19]
	ds_write_b128 v153, v[20:23] offset:6000
	v_fma_f64 v[168:169], v[12:13], -0.5, v[8:9]
	v_add_f64 v[12:13], v[82:83], v[118:119]
	v_fma_f64 v[170:171], v[12:13], -0.5, v[8:9]
	v_add_f64 v[12:13], v[84:85], v[90:91]
	v_add_f64 v[8:9], v[8:9], v[82:83]
	v_fma_f64 v[172:173], v[12:13], -0.5, v[10:11]
	v_add_f64 v[12:13], v[76:77], v[116:117]
	;; [unrolled: 3-line block ×3, first 2 shown]
	v_add_f64 v[12:13], v[68:69], v[86:87]
	v_add_f64 v[8:9], v[8:9], v[106:107]
	;; [unrolled: 1-line block ×7, first 2 shown]
	v_add_f64 v[92:93], v[92:93], -v[130:131]
	v_add_f64 v[10:11], v[10:11], v[116:117]
	v_add_f64 v[176:177], v[12:13], v[130:131]
	;; [unrolled: 1-line block ×4, first 2 shown]
	v_add_f64 v[8:9], v[8:9], -v[176:177]
	v_add_f64 v[10:11], v[10:11], -v[178:179]
	v_add_f64 v[176:177], v[112:113], -v[124:125]
	v_add_f64 v[178:179], v[112:113], -v[40:41]
	v_add_f64 v[112:113], v[124:125], -v[112:113]
	v_add_f64 v[124:125], v[124:125], -v[134:135]
	v_add_f64 v[40:41], v[134:135], -v[40:41]
	v_add_f64 v[134:135], v[114:115], -v[126:127]
	v_add_f64 v[114:115], v[126:127], -v[114:115]
	v_add_f64 v[126:127], v[126:127], -v[48:49]
	v_add_f64 v[48:49], v[120:121], -v[132:133]
	v_add_f64 v[132:133], v[132:133], -v[120:121]
	v_add_f64 v[120:121], v[120:121], v[28:29]
	v_add_f64 v[28:29], v[46:47], -v[28:29]
	v_add_f64 v[46:47], v[122:123], -v[44:45]
	;; [unrolled: 1-line block ×3, first 2 shown]
	v_add_f64 v[122:123], v[122:123], v[26:27]
	v_add_f64 v[26:27], v[52:53], -v[26:27]
	v_add_f64 v[52:53], v[30:31], -v[38:39]
	v_add_f64 v[30:31], v[38:39], -v[30:31]
	v_add_f64 v[38:39], v[38:39], -v[62:63]
	v_add_f64 v[62:63], v[62:63], -v[70:71]
	v_add_f64 v[70:71], v[36:37], -v[24:25]
	v_add_f64 v[36:37], v[24:25], -v[36:37]
	v_add_f64 v[24:25], v[64:65], -v[54:55]
	v_add_f64 v[54:55], v[54:55], -v[64:65]
	v_add_f64 v[64:65], v[50:51], -v[58:59]
	v_add_f64 v[58:59], v[58:59], -v[50:51]
	v_add_f64 v[50:51], v[50:51], v[74:75]
	v_add_f64 v[74:75], v[136:137], -v[138:139]
	v_add_f64 v[138:139], v[138:139], -v[136:137]
	v_add_f64 v[136:137], v[136:137], v[66:67]
	v_add_f64 v[66:67], v[82:83], -v[80:81]
	v_add_f64 v[82:83], v[80:81], -v[82:83]
	;; [unrolled: 1-line block ×10, first 2 shown]
	v_add_f64 v[176:177], v[176:177], v[180:181]
	v_add_f64 v[180:181], v[48:49], v[192:193]
	v_fma_f64 v[48:49], v[194:195], -0.5, v[110:111]
	v_add_f64 v[86:87], v[86:87], v[130:131]
	v_add_f64 v[130:131], v[78:79], -v[88:89]
	v_add_f64 v[88:89], v[88:89], -v[78:79]
	v_add_f64 v[78:79], v[78:79], v[128:129]
	v_fma_f64 v[110:111], v[122:123], -0.5, v[110:111]
	v_add_f64 v[40:41], v[112:113], v[40:41]
	v_fma_f64 v[112:113], v[186:187], -0.5, v[108:109]
	v_add_f64 v[186:187], v[64:65], v[216:217]
	v_add_f64 v[64:65], v[74:75], v[224:225]
	;; [unrolled: 1-line block ×3, first 2 shown]
	v_fma_f64 v[54:55], v[210:211], -0.5, v[32:33]
	v_fma_f64 v[50:51], v[50:51], -0.5, v[32:33]
	v_fma_f64 v[74:75], v[182:183], s[6:7], v[156:157]
	v_add_f64 v[134:135], v[134:135], v[184:185]
	v_add_f64 v[46:47], v[46:47], v[200:201]
	v_fma_f64 v[108:109], v[120:121], -0.5, v[108:109]
	v_add_f64 v[122:123], v[132:133], v[28:29]
	v_add_f64 v[132:133], v[44:45], v[26:27]
	;; [unrolled: 1-line block ×4, first 2 shown]
	v_fma_f64 v[44:45], v[218:219], -0.5, v[34:35]
	v_fma_f64 v[94:95], v[190:191], s[8:9], v[48:49]
	v_fma_f64 v[48:49], v[190:191], s[6:7], v[48:49]
	v_fma_f64 v[70:71], v[136:137], -0.5, v[34:35]
	v_add_f64 v[136:137], v[30:31], v[62:63]
	v_add_f64 v[194:195], v[58:59], v[56:57]
	;; [unrolled: 1-line block ×3, first 2 shown]
	v_fma_f64 v[56:57], v[242:243], -0.5, v[72:73]
	v_fma_f64 v[58:59], v[78:79], -0.5, v[72:73]
	v_add_f64 v[200:201], v[82:83], v[106:107]
	v_add_f64 v[36:37], v[76:77], v[90:91]
	v_fma_f64 v[62:63], v[234:235], -0.5, v[68:69]
	v_fma_f64 v[66:67], v[86:87], -0.5, v[68:69]
	v_add_f64 v[34:35], v[88:89], v[104:105]
	v_fma_f64 v[68:69], v[126:127], s[8:9], v[158:159]
	v_fma_f64 v[72:73], v[126:127], s[6:7], v[158:159]
	;; [unrolled: 1-line block ×12, first 2 shown]
	v_add_f64 v[28:29], v[116:117], v[240:241]
	v_add_f64 v[30:31], v[130:131], v[248:249]
	v_fma_f64 v[92:93], v[188:189], s[8:9], v[110:111]
	v_fma_f64 v[104:105], v[196:197], s[6:7], v[108:109]
	;; [unrolled: 1-line block ×5, first 2 shown]
	v_add_f64 v[52:53], v[52:53], v[204:205]
	v_add_f64 v[60:61], v[138:139], v[60:61]
	v_add_f64 v[42:43], v[114:115], v[42:43]
	v_fma_f64 v[68:69], v[182:183], s[14:15], v[68:69]
	v_fma_f64 v[72:73], v[182:183], s[16:17], v[72:73]
	v_add_f64 v[26:27], v[118:119], v[232:233]
	v_fma_f64 v[78:79], v[178:179], s[16:17], v[78:79]
	v_fma_f64 v[82:83], v[178:179], s[14:15], v[82:83]
	;; [unrolled: 1-line block ×92, first 2 shown]
	v_mul_f64 v[16:17], v[140:141], s[14:15]
	v_mul_f64 v[18:19], v[140:141], s[18:19]
	v_fma_f64 v[58:59], v[176:177], s[4:5], v[178:179]
	v_fma_f64 v[90:91], v[34:35], s[4:5], v[90:91]
	v_fma_f64 v[34:35], v[34:35], s[4:5], v[88:89]
	v_fma_f64 v[108:109], v[246:247], s[14:15], v[38:39]
	v_fma_f64 v[106:107], v[246:247], s[16:17], v[44:45]
	v_fma_f64 v[138:139], v[244:245], s[14:15], v[66:67]
	v_fma_f64 v[118:119], v[244:245], s[16:17], v[62:63]
	v_fma_f64 v[38:39], v[40:41], s[4:5], v[72:73]
	v_fma_f64 v[40:41], v[136:137], s[4:5], v[154:155]
	v_lshlrev_b64 v[154:155], 4, v[102:103]
	v_lshlrev_b32_e32 v102, 2, v149
	v_fma_f64 v[62:63], v[134:135], s[4:5], v[182:183]
	v_fma_f64 v[134:135], v[60:61], s[4:5], v[196:197]
	;; [unrolled: 1-line block ×3, first 2 shown]
	v_mul_f64 v[88:89], v[120:121], s[6:7]
	v_add_co_u32 v149, s0, s12, v154
	v_mov_b32_e32 v154, 0x2ee0
	v_fma_f64 v[44:45], v[42:43], s[4:5], v[82:83]
	v_fma_f64 v[82:83], v[194:195], s[4:5], v[202:203]
	;; [unrolled: 1-line block ×4, first 2 shown]
	v_mul_u32_u24_sdwa v142, v142, v154 dst_sel:DWORD dst_unused:UNUSED_PAD src0_sel:WORD_0 src1_sel:DWORD
	v_fma_f64 v[60:61], v[52:53], s[4:5], v[208:209]
	v_fma_f64 v[64:65], v[184:185], s[4:5], v[216:217]
	;; [unrolled: 1-line block ×4, first 2 shown]
	v_add3_u32 v164, 0, v142, v143
	v_fma_f64 v[142:143], v[36:37], s[4:5], v[104:105]
	v_fma_f64 v[36:37], v[30:31], s[4:5], v[126:127]
	;; [unrolled: 1-line block ×7, first 2 shown]
	v_mul_f64 v[26:27], v[132:133], s[14:15]
	v_mul_f64 v[28:29], v[132:133], s[18:19]
	v_fma_f64 v[30:31], v[30:31], s[4:5], v[110:111]
	v_mul_f64 v[106:107], v[120:121], s[4:5]
	v_mul_f64 v[110:111], v[116:117], s[6:7]
	;; [unrolled: 1-line block ×15, first 2 shown]
	v_fma_f64 v[88:89], v[76:77], s[4:5], v[88:89]
	v_mul_u32_u24_sdwa v154, v144, v154 dst_sel:DWORD dst_unused:UNUSED_PAD src0_sel:WORD_0 src1_sel:DWORD
	v_fma_f64 v[52:53], v[200:201], s[4:5], v[168:169]
	v_add_co_ci_u32_e64 v151, s0, s13, v155, s0
	v_fma_f64 v[26:27], v[86:87], s[18:19], v[26:27]
	v_fma_f64 v[28:29], v[86:87], s[16:17], v[28:29]
	v_mul_f64 v[86:87], v[34:35], s[6:7]
	v_mul_f64 v[34:35], v[34:35], s[20:21]
	v_fma_f64 v[76:77], v[76:77], s[8:9], v[106:107]
	v_mul_f64 v[106:107], v[30:31], s[14:15]
	v_mul_f64 v[30:31], v[30:31], s[22:23]
	v_fma_f64 v[110:111], v[74:75], s[20:21], v[110:111]
	v_fma_f64 v[74:75], v[74:75], s[8:9], v[112:113]
	;; [unrolled: 1-line block ×14, first 2 shown]
	v_add3_u32 v150, 0, v154, v150
	v_fma_f64 v[134:135], v[108:109], s[4:5], v[134:135]
	v_fma_f64 v[154:155], v[108:109], s[8:9], v[90:91]
	;; [unrolled: 1-line block ×7, first 2 shown]
	v_add_f64 v[16:17], v[66:67], v[26:27]
	v_add_f64 v[18:19], v[70:71], v[28:29]
	v_add_f64 v[20:21], v[66:67], -v[26:27]
	v_add_f64 v[24:25], v[48:49], v[88:89]
	v_add_f64 v[26:27], v[54:55], v[76:77]
	;; [unrolled: 1-line block ×4, first 2 shown]
	v_add_f64 v[30:31], v[54:55], -v[76:77]
	v_add_f64 v[36:37], v[38:39], -v[110:111]
	v_add_f64 v[38:39], v[44:45], -v[74:75]
	v_add_f64 v[74:75], v[58:59], v[112:113]
	v_add_f64 v[76:77], v[62:63], v[114:115]
	v_add_f64 v[22:23], v[70:71], -v[28:29]
	v_add_f64 v[28:29], v[48:49], -v[88:89]
	;; [unrolled: 1-line block ×4, first 2 shown]
	v_add_f64 v[82:83], v[68:69], v[116:117]
	v_add_f64 v[84:85], v[72:73], v[92:93]
	v_add_f64 v[66:67], v[68:69], -v[116:117]
	v_add_f64 v[68:69], v[72:73], -v[92:93]
	v_add_f64 v[70:71], v[50:51], v[136:137]
	v_add_f64 v[72:73], v[56:57], v[140:141]
	v_add_f64 v[48:49], v[50:51], -v[136:137]
	v_add_f64 v[50:51], v[56:57], -v[140:141]
	v_add_f64 v[54:55], v[40:41], v[118:119]
	v_add_f64 v[56:57], v[46:47], v[120:121]
	;; [unrolled: 1-line block ×4, first 2 shown]
	v_add_co_u32 v144, s0, 0x2800, v149
	v_add_f64 v[44:45], v[40:41], -v[118:119]
	v_add_f64 v[46:47], v[46:47], -v[120:121]
	;; [unrolled: 1-line block ×4, first 2 shown]
	v_add_co_ci_u32_e64 v145, s0, 0, v151, s0
	v_add_f64 v[62:63], v[124:125], v[132:133]
	v_add_f64 v[64:65], v[126:127], v[104:105]
	v_add_f64 v[92:93], v[126:127], -v[104:105]
	v_add_f64 v[104:105], v[52:53], v[134:135]
	v_add_f64 v[106:107], v[94:95], v[154:155]
	;; [unrolled: 1-line block ×4, first 2 shown]
	v_add_f64 v[90:91], v[124:125], -v[132:133]
	v_add_f64 v[108:109], v[52:53], -v[134:135]
	;; [unrolled: 1-line block ×5, first 2 shown]
	v_add_f64 v[116:117], v[128:129], v[160:161]
	v_add_f64 v[118:119], v[138:139], v[162:163]
	v_add_f64 v[120:121], v[128:129], -v[160:161]
	v_add_f64 v[122:123], v[138:139], -v[162:163]
	ds_write_b128 v153, v[16:19] offset:1200
	ds_write_b128 v153, v[24:27] offset:2400
	;; [unrolled: 1-line block ×8, first 2 shown]
	ds_write_b128 v164, v[4:7]
	ds_write_b128 v164, v[82:85] offset:1200
	ds_write_b128 v164, v[70:73] offset:2400
	;; [unrolled: 1-line block ×9, first 2 shown]
	ds_write_b128 v150, v[12:15]
	ds_write_b128 v150, v[62:65] offset:1200
	ds_write_b128 v150, v[104:107] offset:2400
	;; [unrolled: 1-line block ×9, first 2 shown]
	v_lshlrev_b64 v[6:7], 4, v[102:103]
	s_waitcnt lgkmcnt(0)
	s_barrier
	buffer_gl0_inv
	global_load_dwordx4 v[0:3], v[144:145], off offset:1712
	v_add_co_u32 v4, s0, 0x2eb0, v149
	v_add_co_ci_u32_e64 v5, s0, 0, v151, s0
	v_add_co_u32 v18, s0, s12, v6
	v_add_co_ci_u32_e64 v19, s0, s13, v7, s0
	v_lshlrev_b32_e32 v102, 2, v148
	v_add_co_u32 v16, s0, 0x2800, v18
	v_add_co_ci_u32_e64 v17, s0, 0, v19, s0
	s_clause 0x3
	global_load_dwordx4 v[12:15], v[4:5], off offset:16
	global_load_dwordx4 v[8:11], v[4:5], off offset:32
	;; [unrolled: 1-line block ×4, first 2 shown]
	v_add_co_u32 v16, s0, 0x2eb0, v18
	v_add_co_ci_u32_e64 v17, s0, 0, v19, s0
	v_lshlrev_b64 v[18:19], 4, v[102:103]
	v_lshlrev_b32_e32 v102, 2, v147
	s_clause 0x1
	global_load_dwordx4 v[28:31], v[16:17], off offset:16
	global_load_dwordx4 v[24:27], v[16:17], off offset:32
	v_add_co_u32 v34, s0, s12, v18
	v_add_co_ci_u32_e64 v35, s0, s13, v19, s0
	v_add_co_u32 v32, s0, 0x2800, v34
	v_add_co_ci_u32_e64 v33, s0, 0, v35, s0
	global_load_dwordx4 v[48:51], v[32:33], off offset:1712
	v_add_co_u32 v32, s0, 0x2eb0, v34
	v_add_co_ci_u32_e64 v33, s0, 0, v35, s0
	v_lshlrev_b64 v[34:35], 4, v[102:103]
	v_lshlrev_b32_e32 v102, 2, v146
	s_clause 0x3
	global_load_dwordx4 v[44:47], v[32:33], off offset:16
	global_load_dwordx4 v[16:19], v[16:17], off offset:48
	;; [unrolled: 1-line block ×4, first 2 shown]
	v_add_co_u32 v52, s0, s12, v34
	v_add_co_ci_u32_e64 v53, s0, s13, v35, s0
	v_add_co_u32 v34, s0, 0x2800, v52
	v_add_co_ci_u32_e64 v35, s0, 0, v53, s0
	;; [unrolled: 2-line block ×3, first 2 shown]
	global_load_dwordx4 v[60:63], v[34:35], off offset:1712
	v_lshlrev_b64 v[34:35], 4, v[102:103]
	v_lshlrev_b32_e32 v102, 2, v97
	s_clause 0x2
	global_load_dwordx4 v[68:71], v[32:33], off offset:16
	global_load_dwordx4 v[64:67], v[32:33], off offset:32
	;; [unrolled: 1-line block ×3, first 2 shown]
	v_add_co_u32 v52, s0, s12, v34
	v_add_co_ci_u32_e64 v53, s0, s13, v35, s0
	v_lshlrev_b64 v[78:79], 4, v[102:103]
	v_add_co_u32 v34, s0, 0x2800, v52
	v_add_co_ci_u32_e64 v35, s0, 0, v53, s0
	v_add_co_u32 v72, s0, 0x2eb0, v52
	v_add_co_ci_u32_e64 v73, s0, 0, v53, s0
	global_load_dwordx4 v[32:35], v[34:35], off offset:1712
	v_add_co_u32 v78, s0, s12, v78
	s_clause 0x2
	global_load_dwordx4 v[52:55], v[72:73], off offset:16
	global_load_dwordx4 v[74:77], v[72:73], off offset:32
	;; [unrolled: 1-line block ×3, first 2 shown]
	v_add_co_ci_u32_e64 v79, s0, s13, v79, s0
	v_add_co_u32 v72, s0, 0x2800, v78
	v_add_co_ci_u32_e64 v73, s0, 0, v79, s0
	v_add_co_u32 v78, s0, 0x2eb0, v78
	v_add_co_ci_u32_e64 v79, s0, 0, v79, s0
	s_clause 0x3
	global_load_dwordx4 v[84:87], v[72:73], off offset:1712
	global_load_dwordx4 v[88:91], v[78:79], off offset:16
	;; [unrolled: 1-line block ×4, first 2 shown]
	ds_read_b128 v[92:95], v152 offset:12000
	ds_read_b128 v[112:115], v152 offset:24000
	;; [unrolled: 1-line block ×8, first 2 shown]
	s_waitcnt vmcnt(23) lgkmcnt(7)
	v_mul_f64 v[72:73], v[94:95], v[2:3]
	v_mul_f64 v[2:3], v[92:93], v[2:3]
	s_waitcnt vmcnt(22) lgkmcnt(6)
	v_mul_f64 v[78:79], v[114:115], v[14:15]
	s_waitcnt vmcnt(21) lgkmcnt(5)
	;; [unrolled: 2-line block ×3, first 2 shown]
	v_mul_f64 v[144:145], v[122:123], v[6:7]
	v_mul_f64 v[146:147], v[120:121], v[6:7]
	;; [unrolled: 1-line block ×4, first 2 shown]
	v_fma_f64 v[148:149], v[92:93], v[0:1], v[72:73]
	v_fma_f64 v[150:151], v[94:95], v[0:1], -v[2:3]
	ds_read_b128 v[0:3], v152 offset:16000
	s_waitcnt vmcnt(19) lgkmcnt(4)
	v_mul_f64 v[72:73], v[126:127], v[22:23]
	v_mul_f64 v[22:23], v[124:125], v[22:23]
	ds_read_b128 v[92:95], v152 offset:52000
	v_fma_f64 v[112:113], v[112:113], v[12:13], v[78:79]
	v_fma_f64 v[118:119], v[118:119], v[8:9], -v[142:143]
	v_fma_f64 v[120:121], v[120:121], v[4:5], v[144:145]
	v_fma_f64 v[122:123], v[122:123], v[4:5], -v[146:147]
	;; [unrolled: 2-line block ×3, first 2 shown]
	ds_read_b128 v[10:13], v152 offset:28000
	s_waitcnt vmcnt(17) lgkmcnt(5)
	v_mul_f64 v[78:79], v[134:135], v[26:27]
	v_mul_f64 v[140:141], v[132:133], v[26:27]
	ds_read_b128 v[6:9], v152 offset:40000
	v_fma_f64 v[124:125], v[124:125], v[20:21], v[72:73]
	s_waitcnt vmcnt(16) lgkmcnt(3)
	v_mul_f64 v[72:73], v[2:3], v[50:51]
	s_waitcnt vmcnt(14)
	v_mul_f64 v[142:143], v[136:137], v[18:19]
	v_mul_f64 v[50:51], v[0:1], v[50:51]
	;; [unrolled: 1-line block ×3, first 2 shown]
	v_fma_f64 v[126:127], v[126:127], v[20:21], -v[22:23]
	ds_read_b128 v[18:21], v152 offset:18000
	v_fma_f64 v[132:133], v[132:133], v[24:25], v[78:79]
	v_fma_f64 v[134:135], v[134:135], v[24:25], -v[140:141]
	ds_read_b128 v[22:25], v152 offset:42000
	v_fma_f64 v[138:139], v[138:139], v[16:17], -v[142:143]
	v_fma_f64 v[142:143], v[0:1], v[48:49], v[72:73]
	v_fma_f64 v[48:49], v[2:3], v[48:49], -v[50:51]
	ds_read_b128 v[0:3], v152 offset:20000
	s_waitcnt vmcnt(11) lgkmcnt(2)
	v_mul_f64 v[50:51], v[20:21], v[62:63]
	v_mul_f64 v[62:63], v[18:19], v[62:63]
	v_fma_f64 v[136:137], v[136:137], v[16:17], v[4:5]
	v_add_f64 v[173:174], v[134:135], -v[138:139]
	v_fma_f64 v[50:51], v[18:19], v[60:61], v[50:51]
	v_fma_f64 v[155:156], v[20:21], v[60:61], -v[62:63]
	ds_read_b128 v[18:21], v152 offset:22000
	v_mul_f64 v[14:15], v[130:131], v[30:31]
	v_mul_f64 v[30:31], v[128:129], v[30:31]
	s_waitcnt vmcnt(7) lgkmcnt(1)
	v_mul_f64 v[60:61], v[2:3], v[34:35]
	v_mul_f64 v[34:35], v[0:1], v[34:35]
	v_add_f64 v[165:166], v[124:125], -v[136:137]
	v_add_f64 v[171:172], v[132:133], -v[136:137]
	v_fma_f64 v[128:129], v[128:129], v[28:29], v[14:15]
	v_fma_f64 v[130:131], v[130:131], v[28:29], -v[30:31]
	ds_read_b128 v[26:29], v152 offset:30000
	v_mul_f64 v[30:31], v[12:13], v[46:47]
	v_mul_f64 v[46:47], v[10:11], v[46:47]
	ds_read_b128 v[14:17], v152 offset:54000
	v_add_f64 v[169:170], v[128:129], -v[132:133]
	v_add_f64 v[167:168], v[128:129], -v[124:125]
	v_fma_f64 v[144:145], v[10:11], v[44:45], v[30:31]
	v_fma_f64 v[44:45], v[12:13], v[44:45], -v[46:47]
	s_waitcnt lgkmcnt(1)
	v_mul_f64 v[30:31], v[28:29], v[70:71]
	v_mul_f64 v[46:47], v[26:27], v[70:71]
	ds_read_b128 v[10:13], v152 offset:32000
	v_fma_f64 v[157:158], v[26:27], v[68:69], v[30:31]
	v_fma_f64 v[46:47], v[28:29], v[68:69], -v[46:47]
	ds_read_b128 v[26:29], v152 offset:34000
	v_mul_f64 v[78:79], v[8:9], v[42:43]
	v_mul_f64 v[42:43], v[6:7], v[42:43]
	s_waitcnt vmcnt(6) lgkmcnt(1)
	v_mul_f64 v[30:31], v[12:13], v[54:55]
	v_mul_f64 v[54:55], v[10:11], v[54:55]
	v_fma_f64 v[68:69], v[0:1], v[32:33], v[60:61]
	v_add_f64 v[60:61], v[112:113], -v[148:149]
	v_fma_f64 v[146:147], v[6:7], v[40:41], v[78:79]
	v_fma_f64 v[40:41], v[8:9], v[40:41], -v[42:43]
	ds_read_b128 v[4:7], v152 offset:44000
	v_mul_f64 v[8:9], v[24:25], v[66:67]
	v_mul_f64 v[42:43], v[22:23], v[66:67]
	v_fma_f64 v[70:71], v[10:11], v[52:53], v[30:31]
	s_waitcnt vmcnt(2) lgkmcnt(1)
	v_mul_f64 v[10:11], v[28:29], v[90:91]
	s_waitcnt lgkmcnt(0)
	v_mul_f64 v[62:63], v[4:5], v[76:77]
	v_fma_f64 v[159:160], v[22:23], v[64:65], v[8:9]
	v_fma_f64 v[42:43], v[24:25], v[64:65], -v[42:43]
	ds_read_b128 v[22:25], v152 offset:46000
	v_mul_f64 v[140:141], v[94:95], v[38:39]
	v_mul_f64 v[38:39], v[92:93], v[38:39]
	v_fma_f64 v[64:65], v[2:3], v[32:33], -v[34:35]
	ds_read_b128 v[0:3], v152 offset:58000
	v_mul_f64 v[34:35], v[18:19], v[86:87]
	v_mul_f64 v[8:9], v[6:7], v[76:77]
	;; [unrolled: 1-line block ×3, first 2 shown]
	v_fma_f64 v[72:73], v[26:27], v[88:89], v[10:11]
	v_add_f64 v[10:11], v[112:113], v[116:117]
	v_fma_f64 v[78:79], v[6:7], v[74:75], -v[62:63]
	v_add_f64 v[62:63], v[114:115], -v[150:151]
	s_waitcnt vmcnt(1) lgkmcnt(1)
	v_mul_f64 v[30:31], v[24:25], v[106:107]
	v_fma_f64 v[140:141], v[92:93], v[36:37], v[140:141]
	v_fma_f64 v[153:154], v[94:95], v[36:37], -v[38:39]
	ds_read_b128 v[36:39], v152 offset:56000
	v_mul_f64 v[66:67], v[16:17], v[58:59]
	v_mul_f64 v[58:59], v[14:15], v[58:59]
	v_fma_f64 v[76:77], v[22:23], v[104:105], v[30:31]
	v_add_f64 v[30:31], v[150:151], v[122:123]
	v_add_f64 v[179:180], v[142:143], -v[140:141]
	v_add_f64 v[181:182], v[48:49], -v[153:154]
	;; [unrolled: 1-line block ×3, first 2 shown]
	v_fma_f64 v[161:162], v[14:15], v[56:57], v[66:67]
	v_fma_f64 v[163:164], v[16:17], v[56:57], -v[58:59]
	s_waitcnt lgkmcnt(0)
	v_mul_f64 v[56:57], v[38:39], v[82:83]
	ds_read_b128 v[14:17], v152
	v_mul_f64 v[58:59], v[36:37], v[82:83]
	v_fma_f64 v[66:67], v[12:13], v[52:53], -v[54:55]
	v_mul_f64 v[12:13], v[26:27], v[90:91]
	s_waitcnt vmcnt(0)
	v_mul_f64 v[52:53], v[2:3], v[110:111]
	v_mul_f64 v[54:55], v[0:1], v[110:111]
	v_fma_f64 v[90:91], v[4:5], v[74:75], v[8:9]
	v_mul_f64 v[8:9], v[22:23], v[106:107]
	v_fma_f64 v[74:75], v[18:19], v[84:85], v[32:33]
	ds_read_b128 v[4:7], v152 offset:2000
	v_add_f64 v[26:27], v[122:123], -v[118:119]
	v_add_f64 v[32:33], v[150:151], -v[122:123]
	;; [unrolled: 1-line block ×3, first 2 shown]
	s_waitcnt lgkmcnt(1)
	v_fma_f64 v[10:11], v[10:11], -0.5, v[14:15]
	v_fma_f64 v[92:93], v[36:37], v[80:81], v[56:57]
	v_add_f64 v[36:37], v[14:15], v[148:149]
	v_fma_f64 v[82:83], v[38:39], v[80:81], -v[58:59]
	v_fma_f64 v[80:81], v[20:21], v[84:85], -v[34:35]
	;; [unrolled: 1-line block ×3, first 2 shown]
	v_fma_f64 v[84:85], v[0:1], v[108:109], v[52:53]
	v_fma_f64 v[94:95], v[2:3], v[108:109], -v[54:55]
	v_add_f64 v[0:1], v[148:149], -v[112:113]
	v_add_f64 v[2:3], v[120:121], -v[116:117]
	v_add_f64 v[28:29], v[148:149], v[120:121]
	v_fma_f64 v[88:89], v[24:25], v[104:105], -v[8:9]
	v_add_f64 v[38:39], v[16:17], v[150:151]
	v_add_f64 v[12:13], v[114:115], v[118:119]
	v_add_f64 v[24:25], v[150:151], -v[114:115]
	v_add_f64 v[34:35], v[128:129], v[132:133]
	v_add_f64 v[52:53], v[126:127], v[138:139]
	v_add_f64 v[56:57], v[148:149], -v[120:121]
	v_add_f64 v[54:55], v[114:115], -v[118:119]
	;; [unrolled: 1-line block ×6, first 2 shown]
	v_add_f64 v[20:21], v[36:37], v[112:113]
	v_add_f64 v[36:37], v[130:131], v[134:135]
	v_add_f64 v[112:113], v[124:125], -v[128:129]
	v_add_f64 v[185:186], v[74:75], -v[84:85]
	;; [unrolled: 1-line block ×3, first 2 shown]
	v_fma_f64 v[14:15], v[28:29], -0.5, v[14:15]
	v_add_f64 v[22:23], v[38:39], v[114:115]
	v_add_f64 v[38:39], v[124:125], v[136:137]
	v_fma_f64 v[12:13], v[12:13], -0.5, v[16:17]
	v_fma_f64 v[16:17], v[30:31], -0.5, v[16:17]
	v_add_f64 v[108:109], v[24:25], v[26:27]
	v_add_f64 v[114:115], v[136:137], -v[132:133]
	v_add_f64 v[20:21], v[20:21], v[116:117]
	v_add_f64 v[116:117], v[126:127], -v[130:131]
	v_fma_f64 v[110:111], v[54:55], s[8:9], v[14:15]
	v_fma_f64 v[14:15], v[54:55], s[6:7], v[14:15]
	v_add_f64 v[22:23], v[22:23], v[118:119]
	v_add_f64 v[118:119], v[138:139], -v[134:135]
	v_add_f64 v[28:29], v[20:21], v[120:121]
	v_add_f64 v[20:21], v[0:1], v[2:3]
	ds_read_b128 v[0:3], v152 offset:4000
	s_waitcnt lgkmcnt(1)
	v_add_f64 v[8:9], v[4:5], v[124:125]
	v_add_f64 v[18:19], v[6:7], v[126:127]
	v_fma_f64 v[34:35], v[34:35], -0.5, v[4:5]
	v_fma_f64 v[36:37], v[36:37], -0.5, v[6:7]
	;; [unrolled: 1-line block ×4, first 2 shown]
	v_fma_f64 v[4:5], v[32:33], s[6:7], v[10:11]
	v_fma_f64 v[6:7], v[32:33], s[8:9], v[10:11]
	;; [unrolled: 1-line block ×4, first 2 shown]
	v_add_f64 v[30:31], v[22:23], v[122:123]
	v_add_f64 v[22:23], v[144:145], v[146:147]
	v_fma_f64 v[14:15], v[32:33], s[16:17], v[14:15]
	v_add_f64 v[120:121], v[130:131], -v[134:135]
	v_add_f64 v[126:127], v[161:162], -v[159:160]
	;; [unrolled: 1-line block ×3, first 2 shown]
	v_add_f64 v[8:9], v[8:9], v[128:129]
	v_add_f64 v[18:19], v[18:19], v[130:131]
	v_add_f64 v[128:129], v[155:156], -v[46:47]
	v_add_f64 v[130:131], v[46:47], -v[155:156]
	v_fma_f64 v[4:5], v[54:55], s[14:15], v[4:5]
	v_fma_f64 v[54:55], v[54:55], s[16:17], v[6:7]
	;; [unrolled: 1-line block ×6, first 2 shown]
	v_add_f64 v[58:59], v[44:45], v[40:41]
	v_add_f64 v[8:9], v[8:9], v[132:133]
	;; [unrolled: 1-line block ×3, first 2 shown]
	v_add_f64 v[134:135], v[163:164], -v[42:43]
	v_add_f64 v[132:133], v[42:43], -v[163:164]
	v_fma_f64 v[4:5], v[20:21], s[4:5], v[4:5]
	v_fma_f64 v[122:123], v[56:57], s[16:17], v[6:7]
	;; [unrolled: 1-line block ×4, first 2 shown]
	v_add_f64 v[56:57], v[46:47], v[42:43]
	v_add_f64 v[24:25], v[8:9], v[136:137]
	v_add_f64 v[8:9], v[142:143], v[140:141]
	v_add_f64 v[26:27], v[18:19], v[138:139]
	s_waitcnt lgkmcnt(0)
	v_fma_f64 v[138:139], v[58:59], -0.5, v[2:3]
	v_add_f64 v[58:59], v[2:3], v[48:49]
	v_fma_f64 v[136:137], v[22:23], -0.5, v[0:1]
	v_add_f64 v[22:23], v[0:1], v[142:143]
	v_add_f64 v[18:19], v[60:61], v[104:105]
	;; [unrolled: 1-line block ×3, first 2 shown]
	v_fma_f64 v[62:63], v[32:33], s[14:15], v[110:111]
	v_add_f64 v[32:33], v[157:158], v[159:160]
	v_fma_f64 v[175:176], v[8:9], -0.5, v[0:1]
	v_add_f64 v[8:9], v[48:49], v[153:154]
	v_fma_f64 v[0:1], v[20:21], s[4:5], v[54:55]
	v_add_f64 v[20:21], v[112:113], v[114:115]
	v_add_f64 v[58:59], v[58:59], v[44:45]
	;; [unrolled: 1-line block ×3, first 2 shown]
	v_add_f64 v[112:113], v[50:51], -v[161:162]
	v_add_f64 v[114:115], v[157:158], -v[159:160]
	v_fma_f64 v[177:178], v[8:9], -0.5, v[2:3]
	v_fma_f64 v[2:3], v[108:109], s[4:5], v[12:13]
	v_add_f64 v[12:13], v[50:51], v[161:162]
	ds_read_b128 v[8:11], v152 offset:6000
	v_add_f64 v[58:59], v[58:59], v[40:41]
	s_waitcnt lgkmcnt(0)
	v_fma_f64 v[108:109], v[32:33], -0.5, v[8:9]
	v_fma_f64 v[110:111], v[12:13], -0.5, v[8:9]
	v_add_f64 v[12:13], v[155:156], v[163:164]
	v_add_f64 v[32:33], v[8:9], v[50:51]
	v_fma_f64 v[8:9], v[18:19], s[4:5], v[62:63]
	v_fma_f64 v[104:105], v[56:57], -0.5, v[10:11]
	v_add_f64 v[54:55], v[10:11], v[155:156]
	v_add_f64 v[56:57], v[116:117], v[118:119]
	;; [unrolled: 1-line block ×3, first 2 shown]
	v_add_f64 v[118:119], v[46:47], -v[42:43]
	v_add_f64 v[116:117], v[155:156], -v[163:164]
	v_fma_f64 v[106:107], v[12:13], -0.5, v[10:11]
	v_fma_f64 v[12:13], v[18:19], s[4:5], v[14:15]
	v_fma_f64 v[14:15], v[60:61], s[4:5], v[16:17]
	;; [unrolled: 1-line block ×7, first 2 shown]
	v_add_f64 v[60:61], v[22:23], v[146:147]
	v_add_f64 v[32:33], v[32:33], v[157:158]
	;; [unrolled: 1-line block ×3, first 2 shown]
	v_add_f64 v[122:123], v[157:158], -v[50:51]
	v_add_f64 v[46:47], v[150:151], v[173:174]
	v_add_f64 v[173:174], v[66:67], -v[78:79]
	v_fma_f64 v[16:17], v[120:121], s[14:15], v[16:17]
	v_fma_f64 v[18:19], v[169:170], s[16:17], v[18:19]
	;; [unrolled: 1-line block ×4, first 2 shown]
	v_add_f64 v[60:61], v[60:61], v[140:141]
	v_add_f64 v[32:33], v[32:33], v[159:160]
	;; [unrolled: 1-line block ×5, first 2 shown]
	v_add_f64 v[167:168], v[70:71], -v[90:91]
	v_add_f64 v[171:172], v[90:91], -v[92:93]
	v_fma_f64 v[16:17], v[20:21], s[4:5], v[16:17]
	v_fma_f64 v[18:19], v[56:57], s[4:5], v[18:19]
	;; [unrolled: 1-line block ×4, first 2 shown]
	v_add_f64 v[34:35], v[142:143], -v[144:145]
	v_add_f64 v[36:37], v[144:145], -v[142:143]
	;; [unrolled: 1-line block ×9, first 2 shown]
	v_fma_f64 v[153:154], v[120:121], s[8:9], v[38:39]
	v_fma_f64 v[38:39], v[120:121], s[6:7], v[38:39]
	v_add_f64 v[120:121], v[50:51], -v[157:158]
	v_add_f64 v[56:57], v[32:33], v[161:162]
	v_fma_f64 v[32:33], v[169:170], s[6:7], v[52:53]
	v_add_f64 v[58:59], v[54:55], v[163:164]
	v_add_f64 v[157:158], v[70:71], v[90:91]
	v_add_f64 v[161:162], v[68:69], -v[70:71]
	v_add_f64 v[163:164], v[68:69], -v[92:93]
	v_add_f64 v[50:51], v[34:35], v[144:145]
	v_fma_f64 v[34:35], v[169:170], s[8:9], v[52:53]
	v_add_f64 v[54:55], v[140:141], v[183:184]
	v_add_f64 v[140:141], v[36:37], v[146:147]
	v_fma_f64 v[146:147], v[44:45], s[8:9], v[175:176]
	v_add_f64 v[144:145], v[48:49], v[40:41]
	v_fma_f64 v[40:41], v[181:182], s[6:7], v[136:137]
	v_fma_f64 v[48:49], v[181:182], s[8:9], v[136:137]
	;; [unrolled: 1-line block ×7, first 2 shown]
	ds_read_b128 v[153:156], v152 offset:8000
	v_add_f64 v[169:170], v[92:93], -v[90:91]
	v_add_f64 v[175:176], v[82:83], -v[78:79]
	v_add_f64 v[120:121], v[120:121], v[126:127]
	v_add_f64 v[126:127], v[128:129], v[134:135]
	v_fma_f64 v[128:129], v[114:115], s[8:9], v[106:107]
	v_add_f64 v[183:184], v[88:89], -v[94:95]
	v_fma_f64 v[136:137], v[165:166], s[14:15], v[34:35]
	v_fma_f64 v[34:35], v[179:180], s[6:7], v[138:139]
	v_fma_f64 v[138:139], v[142:143], s[8:9], v[177:178]
	v_add_f64 v[165:166], v[70:71], -v[68:69]
	v_fma_f64 v[40:41], v[44:45], s[14:15], v[40:41]
	v_fma_f64 v[48:49], v[44:45], s[16:17], v[48:49]
	;; [unrolled: 4-line block ×3, first 2 shown]
	v_fma_f64 v[36:37], v[42:43], s[4:5], v[38:39]
	v_fma_f64 v[38:39], v[46:47], s[4:5], v[136:137]
	;; [unrolled: 1-line block ×7, first 2 shown]
	v_add_f64 v[148:149], v[72:73], v[76:77]
	v_fma_f64 v[146:147], v[179:180], s[16:17], v[44:45]
	v_fma_f64 v[44:45], v[50:51], s[4:5], v[40:41]
	;; [unrolled: 1-line block ×3, first 2 shown]
	v_add_f64 v[181:182], v[94:95], -v[88:89]
	v_fma_f64 v[46:47], v[54:55], s[4:5], v[150:151]
	v_add_f64 v[150:151], v[66:67], v[78:79]
	v_add_f64 v[179:180], v[86:87], -v[88:89]
	v_fma_f64 v[42:43], v[54:55], s[4:5], v[142:143]
	v_add_f64 v[142:143], v[68:69], v[92:93]
	v_fma_f64 v[48:49], v[140:141], s[4:5], v[52:53]
	v_fma_f64 v[54:55], v[144:145], s[4:5], v[138:139]
	;; [unrolled: 1-line block ×3, first 2 shown]
	s_waitcnt lgkmcnt(0)
	v_fma_f64 v[140:141], v[157:158], -0.5, v[153:154]
	v_fma_f64 v[50:51], v[144:145], s[4:5], v[146:147]
	v_add_f64 v[146:147], v[64:65], v[82:83]
	v_add_f64 v[144:145], v[153:154], v[68:69]
	;; [unrolled: 1-line block ×3, first 2 shown]
	v_fma_f64 v[136:137], v[150:151], -0.5, v[155:156]
	v_add_f64 v[150:151], v[86:87], v[88:89]
	v_fma_f64 v[142:143], v[142:143], -0.5, v[153:154]
	v_fma_f64 v[138:139], v[146:147], -0.5, v[155:156]
	v_add_f64 v[146:147], v[155:156], v[64:65]
	v_add_f64 v[144:145], v[144:145], v[70:71]
	ds_read_b128 v[153:156], v152 offset:10000
	s_waitcnt lgkmcnt(0)
	s_barrier
	buffer_gl0_inv
	v_fma_f64 v[134:135], v[167:168], s[6:7], v[138:139]
	v_add_f64 v[146:147], v[146:147], v[66:67]
	v_fma_f64 v[148:149], v[148:149], -0.5, v[153:154]
	v_fma_f64 v[150:151], v[150:151], -0.5, v[155:156]
	;; [unrolled: 1-line block ×4, first 2 shown]
	v_add_f64 v[153:154], v[153:154], v[74:75]
	v_add_f64 v[155:156], v[155:156], v[80:81]
	;; [unrolled: 1-line block ×3, first 2 shown]
	v_add_f64 v[90:91], v[64:65], -v[66:67]
	v_fma_f64 v[134:135], v[163:164], s[16:17], v[134:135]
	v_add_f64 v[146:147], v[146:147], v[78:79]
	v_add_f64 v[78:79], v[78:79], -v[82:83]
	v_add_f64 v[68:69], v[144:145], v[92:93]
	v_add_f64 v[144:145], v[64:65], -v[82:83]
	v_add_f64 v[92:93], v[122:123], v[124:125]
	v_fma_f64 v[122:123], v[118:119], s[8:9], v[110:111]
	v_fma_f64 v[124:125], v[118:119], s[6:7], v[110:111]
	;; [unrolled: 1-line block ×4, first 2 shown]
	v_add_f64 v[90:91], v[90:91], v[175:176]
	v_add_f64 v[70:71], v[146:147], v[82:83]
	v_add_f64 v[146:147], v[66:67], -v[64:65]
	v_add_f64 v[64:65], v[155:156], v[86:87]
	v_add_f64 v[66:67], v[153:154], v[72:73]
	v_add_f64 v[153:154], v[80:81], -v[86:87]
	v_add_f64 v[155:156], v[80:81], -v[94:95]
	;; [unrolled: 1-line block ×5, first 2 shown]
	v_add_f64 v[86:87], v[146:147], v[78:79]
	v_add_f64 v[64:65], v[64:65], v[88:89]
	;; [unrolled: 1-line block ×3, first 2 shown]
	v_fma_f64 v[146:147], v[179:180], s[6:7], v[157:158]
	v_add_f64 v[88:89], v[161:162], v[169:170]
	v_add_f64 v[78:79], v[177:178], v[183:184]
	;; [unrolled: 1-line block ×4, first 2 shown]
	v_add_f64 v[82:83], v[84:85], -v[76:77]
	v_add_f64 v[76:77], v[74:75], v[187:188]
	v_fma_f64 v[74:75], v[116:117], s[6:7], v[108:109]
	v_fma_f64 v[108:109], v[116:117], s[8:9], v[108:109]
	v_add_f64 v[94:95], v[130:131], v[132:133]
	v_fma_f64 v[130:131], v[173:174], s[6:7], v[142:143]
	v_add_f64 v[84:85], v[165:166], v[171:172]
	v_add_f64 v[80:81], v[80:81], v[82:83]
	;; [unrolled: 1-line block ×3, first 2 shown]
	v_fma_f64 v[74:75], v[118:119], s[14:15], v[74:75]
	v_fma_f64 v[108:109], v[118:119], s[16:17], v[108:109]
	v_fma_f64 v[118:119], v[114:115], s[6:7], v[106:107]
	v_fma_f64 v[153:154], v[114:115], s[16:17], v[110:111]
	v_fma_f64 v[110:111], v[114:115], s[14:15], v[104:105]
	v_fma_f64 v[106:107], v[116:117], s[14:15], v[122:123]
	v_fma_f64 v[104:105], v[116:117], s[16:17], v[124:125]
	v_fma_f64 v[116:117], v[144:145], s[6:7], v[140:141]
	v_fma_f64 v[122:123], v[144:145], s[8:9], v[140:141]
	v_fma_f64 v[124:125], v[173:174], s[8:9], v[142:143]
	v_fma_f64 v[140:141], v[155:156], s[8:9], v[148:149]
	v_fma_f64 v[142:143], v[179:180], s[8:9], v[157:158]
	v_fma_f64 v[157:158], v[72:73], s[8:9], v[159:160]
	v_fma_f64 v[108:109], v[120:121], s[4:5], v[108:109]
	v_fma_f64 v[114:115], v[112:113], s[16:17], v[118:119]
	v_fma_f64 v[112:113], v[112:113], s[14:15], v[128:129]
	v_fma_f64 v[128:129], v[163:164], s[6:7], v[136:137]
	v_fma_f64 v[110:111], v[126:127], s[4:5], v[110:111]
	v_fma_f64 v[118:119], v[173:174], s[14:15], v[116:117]
	v_fma_f64 v[116:117], v[173:174], s[16:17], v[122:123]
	v_fma_f64 v[122:123], v[163:164], s[8:9], v[136:137]
	v_fma_f64 v[136:137], v[167:168], s[8:9], v[138:139]
	v_fma_f64 v[124:125], v[144:145], s[14:15], v[124:125]
	v_fma_f64 v[142:143], v[155:156], s[14:15], v[142:143]
	v_fma_f64 v[128:129], v[167:168], s[14:15], v[128:129]
	v_fma_f64 v[132:133], v[167:168], s[16:17], v[122:123]
	v_fma_f64 v[122:123], v[144:145], s[16:17], v[130:131]
	v_fma_f64 v[130:131], v[163:164], s[14:15], v[136:137]
	v_fma_f64 v[136:137], v[155:156], s[6:7], v[148:149]
	v_fma_f64 v[144:145], v[185:186], s[6:7], v[150:151]
	v_fma_f64 v[138:139], v[179:180], s[14:15], v[136:137]
	v_fma_f64 v[136:137], v[179:180], s[16:17], v[140:141]
	v_fma_f64 v[140:141], v[185:186], s[8:9], v[150:151]
	v_fma_f64 v[150:151], v[72:73], s[6:7], v[159:160]
	v_fma_f64 v[144:145], v[72:73], s[14:15], v[144:145]
	v_fma_f64 v[148:149], v[72:73], s[16:17], v[140:141]
	v_fma_f64 v[140:141], v[155:156], s[16:17], v[146:147]
	v_fma_f64 v[150:151], v[185:186], s[16:17], v[150:151]
	v_fma_f64 v[146:147], v[185:186], s[14:15], v[157:158]
	v_fma_f64 v[72:73], v[120:121], s[4:5], v[74:75]
	v_fma_f64 v[74:75], v[126:127], s[4:5], v[153:154]
	v_fma_f64 v[153:154], v[92:93], s[4:5], v[106:107]
	v_fma_f64 v[155:156], v[94:95], s[4:5], v[114:115]
	v_fma_f64 v[92:93], v[92:93], s[4:5], v[104:105]
	v_fma_f64 v[94:95], v[94:95], s[4:5], v[112:113]
	v_fma_f64 v[104:105], v[88:89], s[4:5], v[118:119]
	v_fma_f64 v[106:107], v[90:91], s[4:5], v[132:133]
	v_fma_f64 v[88:89], v[88:89], s[4:5], v[116:117]
	v_fma_f64 v[90:91], v[90:91], s[4:5], v[128:129]
	v_fma_f64 v[112:113], v[84:85], s[4:5], v[124:125]
	v_fma_f64 v[114:115], v[86:87], s[4:5], v[134:135]
	v_fma_f64 v[84:85], v[84:85], s[4:5], v[122:123]
	v_fma_f64 v[86:87], v[86:87], s[4:5], v[130:131]
	v_fma_f64 v[116:117], v[80:81], s[4:5], v[138:139]
	v_fma_f64 v[80:81], v[80:81], s[4:5], v[136:137]
	v_fma_f64 v[120:121], v[76:77], s[4:5], v[142:143]
	v_fma_f64 v[118:119], v[82:83], s[4:5], v[148:149]
	v_fma_f64 v[82:83], v[82:83], s[4:5], v[144:145]
	v_fma_f64 v[122:123], v[78:79], s[4:5], v[150:151]
	v_fma_f64 v[76:77], v[76:77], s[4:5], v[140:141]
	v_fma_f64 v[78:79], v[78:79], s[4:5], v[146:147]
	ds_write_b128 v152, v[28:31]
	ds_write_b128 v152, v[24:27] offset:2000
	ds_write_b128 v152, v[60:63] offset:4000
	;; [unrolled: 1-line block ×29, first 2 shown]
	s_waitcnt lgkmcnt(0)
	s_barrier
	buffer_gl0_inv
	s_and_saveexec_b32 s0, vcc_lo
	s_cbranch_execz .LBB0_21
; %bb.20:
	v_mul_lo_u32 v2, s3, v100
	v_mul_lo_u32 v3, s2, v101
	v_mad_u64_u32 v[0:1], null, s2, v100, 0
	v_lshl_add_u32 v30, v96, 4, 0
	v_mov_b32_e32 v97, v103
	v_lshlrev_b64 v[8:9], 4, v[98:99]
	v_add_nc_u32_e32 v102, 0x7d, v96
	v_add3_u32 v1, v1, v3, v2
	v_lshlrev_b64 v[10:11], 4, v[96:97]
	v_lshlrev_b64 v[14:15], 4, v[102:103]
	v_add_nc_u32_e32 v102, 0xfa, v96
	v_lshlrev_b64 v[12:13], 4, v[0:1]
	ds_read_b128 v[0:3], v30
	ds_read_b128 v[4:7], v30 offset:58000
	v_lshlrev_b64 v[20:21], 4, v[102:103]
	v_add_nc_u32_e32 v102, 0x177, v96
	v_add_co_u32 v12, vcc_lo, s10, v12
	v_add_co_ci_u32_e32 v13, vcc_lo, s11, v13, vcc_lo
	v_lshlrev_b64 v[24:25], 4, v[102:103]
	v_add_co_u32 v31, vcc_lo, v12, v8
	v_add_co_ci_u32_e32 v32, vcc_lo, v13, v9, vcc_lo
	v_add_nc_u32_e32 v102, 0x1f4, v96
	v_add_co_u32 v8, vcc_lo, v31, v10
	v_add_co_ci_u32_e32 v9, vcc_lo, v32, v11, vcc_lo
	v_add_co_u32 v22, vcc_lo, v31, v14
	v_add_co_ci_u32_e32 v23, vcc_lo, v32, v15, vcc_lo
	s_waitcnt lgkmcnt(1)
	global_store_dwordx4 v[8:9], v[0:3], off
	ds_read_b128 v[0:3], v30 offset:2000
	ds_read_b128 v[8:11], v30 offset:4000
	;; [unrolled: 1-line block ×4, first 2 shown]
	v_add_co_u32 v20, vcc_lo, v31, v20
	v_lshlrev_b64 v[26:27], 4, v[102:103]
	v_add_nc_u32_e32 v102, 0x271, v96
	v_add_co_ci_u32_e32 v21, vcc_lo, v32, v21, vcc_lo
	v_add_co_u32 v24, vcc_lo, v31, v24
	v_add_co_ci_u32_e32 v25, vcc_lo, v32, v25, vcc_lo
	v_add_co_u32 v26, vcc_lo, v31, v26
	v_lshlrev_b64 v[28:29], 4, v[102:103]
	v_add_nc_u32_e32 v102, 0x2ee, v96
	v_add_co_ci_u32_e32 v27, vcc_lo, v32, v27, vcc_lo
	s_waitcnt lgkmcnt(3)
	global_store_dwordx4 v[22:23], v[0:3], off
	s_waitcnt lgkmcnt(2)
	global_store_dwordx4 v[20:21], v[8:11], off
	;; [unrolled: 2-line block ×4, first 2 shown]
	v_lshlrev_b64 v[20:21], 4, v[102:103]
	v_add_nc_u32_e32 v102, 0x36b, v96
	ds_read_b128 v[0:3], v30 offset:10000
	ds_read_b128 v[8:11], v30 offset:12000
	;; [unrolled: 1-line block ×4, first 2 shown]
	v_add_co_u32 v22, vcc_lo, v31, v28
	v_lshlrev_b64 v[24:25], 4, v[102:103]
	v_add_nc_u32_e32 v102, 0x3e8, v96
	v_add_co_ci_u32_e32 v23, vcc_lo, v32, v29, vcc_lo
	v_add_co_u32 v20, vcc_lo, v31, v20
	v_lshlrev_b64 v[26:27], 4, v[102:103]
	v_add_nc_u32_e32 v102, 0x465, v96
	v_add_co_ci_u32_e32 v21, vcc_lo, v32, v21, vcc_lo
	v_add_co_u32 v24, vcc_lo, v31, v24
	v_add_co_ci_u32_e32 v25, vcc_lo, v32, v25, vcc_lo
	v_add_co_u32 v26, vcc_lo, v31, v26
	v_lshlrev_b64 v[28:29], 4, v[102:103]
	v_add_nc_u32_e32 v102, 0x4e2, v96
	v_add_co_ci_u32_e32 v27, vcc_lo, v32, v27, vcc_lo
	s_waitcnt lgkmcnt(3)
	global_store_dwordx4 v[22:23], v[0:3], off
	s_waitcnt lgkmcnt(2)
	global_store_dwordx4 v[20:21], v[8:11], off
	s_waitcnt lgkmcnt(1)
	global_store_dwordx4 v[24:25], v[12:15], off
	s_waitcnt lgkmcnt(0)
	global_store_dwordx4 v[26:27], v[16:19], off
	ds_read_b128 v[0:3], v30 offset:18000
	ds_read_b128 v[8:11], v30 offset:20000
	v_lshlrev_b64 v[20:21], 4, v[102:103]
	v_add_nc_u32_e32 v102, 0x55f, v96
	ds_read_b128 v[12:15], v30 offset:22000
	ds_read_b128 v[16:19], v30 offset:24000
	v_add_co_u32 v22, vcc_lo, v31, v28
	v_add_co_ci_u32_e32 v23, vcc_lo, v32, v29, vcc_lo
	v_lshlrev_b64 v[24:25], 4, v[102:103]
	v_add_nc_u32_e32 v102, 0x5dc, v96
	v_add_co_u32 v20, vcc_lo, v31, v20
	v_add_co_ci_u32_e32 v21, vcc_lo, v32, v21, vcc_lo
	v_lshlrev_b64 v[26:27], 4, v[102:103]
	v_add_nc_u32_e32 v102, 0x659, v96
	v_add_co_u32 v24, vcc_lo, v31, v24
	v_add_co_ci_u32_e32 v25, vcc_lo, v32, v25, vcc_lo
	v_add_co_u32 v26, vcc_lo, v31, v26
	v_lshlrev_b64 v[28:29], 4, v[102:103]
	v_add_nc_u32_e32 v102, 0x6d6, v96
	v_add_co_ci_u32_e32 v27, vcc_lo, v32, v27, vcc_lo
	s_waitcnt lgkmcnt(3)
	global_store_dwordx4 v[22:23], v[0:3], off
	s_waitcnt lgkmcnt(2)
	global_store_dwordx4 v[20:21], v[8:11], off
	s_waitcnt lgkmcnt(1)
	global_store_dwordx4 v[24:25], v[12:15], off
	s_waitcnt lgkmcnt(0)
	global_store_dwordx4 v[26:27], v[16:19], off
	ds_read_b128 v[0:3], v30 offset:26000
	ds_read_b128 v[8:11], v30 offset:28000
	v_lshlrev_b64 v[20:21], 4, v[102:103]
	v_add_nc_u32_e32 v102, 0x753, v96
	ds_read_b128 v[12:15], v30 offset:30000
	ds_read_b128 v[16:19], v30 offset:32000
	v_add_co_u32 v22, vcc_lo, v31, v28
	v_add_co_ci_u32_e32 v23, vcc_lo, v32, v29, vcc_lo
	v_lshlrev_b64 v[24:25], 4, v[102:103]
	v_add_nc_u32_e32 v102, 0x7d0, v96
	v_add_co_u32 v20, vcc_lo, v31, v20
	v_add_co_ci_u32_e32 v21, vcc_lo, v32, v21, vcc_lo
	v_lshlrev_b64 v[26:27], 4, v[102:103]
	v_add_nc_u32_e32 v102, 0x84d, v96
	;; [unrolled: 28-line block ×4, first 2 shown]
	v_add_co_u32 v24, vcc_lo, v31, v24
	v_add_co_ci_u32_e32 v25, vcc_lo, v32, v25, vcc_lo
	v_lshlrev_b64 v[28:29], 4, v[102:103]
	v_add_nc_u32_e32 v102, 0xcb2, v96
	v_add_co_u32 v26, vcc_lo, v31, v26
	v_add_co_ci_u32_e32 v27, vcc_lo, v32, v27, vcc_lo
	s_waitcnt lgkmcnt(3)
	global_store_dwordx4 v[22:23], v[0:3], off
	s_waitcnt lgkmcnt(2)
	global_store_dwordx4 v[20:21], v[8:11], off
	;; [unrolled: 2-line block ×4, first 2 shown]
	v_lshlrev_b64 v[20:21], 4, v[102:103]
	v_add_nc_u32_e32 v102, 0xd2f, v96
	ds_read_b128 v[0:3], v30 offset:50000
	ds_read_b128 v[8:11], v30 offset:52000
	;; [unrolled: 1-line block ×4, first 2 shown]
	v_add_co_u32 v22, vcc_lo, v31, v28
	v_lshlrev_b64 v[24:25], 4, v[102:103]
	v_add_nc_u32_e32 v102, 0xdac, v96
	v_add_co_ci_u32_e32 v23, vcc_lo, v32, v29, vcc_lo
	v_add_co_u32 v20, vcc_lo, v31, v20
	v_lshlrev_b64 v[26:27], 4, v[102:103]
	v_add_nc_u32_e32 v102, 0xe29, v96
	v_add_co_ci_u32_e32 v21, vcc_lo, v32, v21, vcc_lo
	v_add_co_u32 v24, vcc_lo, v31, v24
	v_lshlrev_b64 v[28:29], 4, v[102:103]
	v_add_co_ci_u32_e32 v25, vcc_lo, v32, v25, vcc_lo
	v_add_co_u32 v26, vcc_lo, v31, v26
	v_add_co_ci_u32_e32 v27, vcc_lo, v32, v27, vcc_lo
	v_add_co_u32 v28, vcc_lo, v31, v28
	v_add_co_ci_u32_e32 v29, vcc_lo, v32, v29, vcc_lo
	s_waitcnt lgkmcnt(3)
	global_store_dwordx4 v[22:23], v[0:3], off
	s_waitcnt lgkmcnt(2)
	global_store_dwordx4 v[20:21], v[8:11], off
	;; [unrolled: 2-line block ×4, first 2 shown]
	global_store_dwordx4 v[28:29], v[4:7], off
.LBB0_21:
	s_endpgm
	.section	.rodata,"a",@progbits
	.p2align	6, 0x0
	.amdhsa_kernel fft_rtc_back_len3750_factors_3_5_5_10_5_wgs_125_tpt_125_halfLds_dp_op_CI_CI_unitstride_sbrr_C2R_dirReg
		.amdhsa_group_segment_fixed_size 0
		.amdhsa_private_segment_fixed_size 0
		.amdhsa_kernarg_size 104
		.amdhsa_user_sgpr_count 6
		.amdhsa_user_sgpr_private_segment_buffer 1
		.amdhsa_user_sgpr_dispatch_ptr 0
		.amdhsa_user_sgpr_queue_ptr 0
		.amdhsa_user_sgpr_kernarg_segment_ptr 1
		.amdhsa_user_sgpr_dispatch_id 0
		.amdhsa_user_sgpr_flat_scratch_init 0
		.amdhsa_user_sgpr_private_segment_size 0
		.amdhsa_wavefront_size32 1
		.amdhsa_uses_dynamic_stack 0
		.amdhsa_system_sgpr_private_segment_wavefront_offset 0
		.amdhsa_system_sgpr_workgroup_id_x 1
		.amdhsa_system_sgpr_workgroup_id_y 0
		.amdhsa_system_sgpr_workgroup_id_z 0
		.amdhsa_system_sgpr_workgroup_info 0
		.amdhsa_system_vgpr_workitem_id 0
		.amdhsa_next_free_vgpr 250
		.amdhsa_next_free_sgpr 27
		.amdhsa_reserve_vcc 1
		.amdhsa_reserve_flat_scratch 0
		.amdhsa_float_round_mode_32 0
		.amdhsa_float_round_mode_16_64 0
		.amdhsa_float_denorm_mode_32 3
		.amdhsa_float_denorm_mode_16_64 3
		.amdhsa_dx10_clamp 1
		.amdhsa_ieee_mode 1
		.amdhsa_fp16_overflow 0
		.amdhsa_workgroup_processor_mode 1
		.amdhsa_memory_ordered 1
		.amdhsa_forward_progress 0
		.amdhsa_shared_vgpr_count 0
		.amdhsa_exception_fp_ieee_invalid_op 0
		.amdhsa_exception_fp_denorm_src 0
		.amdhsa_exception_fp_ieee_div_zero 0
		.amdhsa_exception_fp_ieee_overflow 0
		.amdhsa_exception_fp_ieee_underflow 0
		.amdhsa_exception_fp_ieee_inexact 0
		.amdhsa_exception_int_div_zero 0
	.end_amdhsa_kernel
	.text
.Lfunc_end0:
	.size	fft_rtc_back_len3750_factors_3_5_5_10_5_wgs_125_tpt_125_halfLds_dp_op_CI_CI_unitstride_sbrr_C2R_dirReg, .Lfunc_end0-fft_rtc_back_len3750_factors_3_5_5_10_5_wgs_125_tpt_125_halfLds_dp_op_CI_CI_unitstride_sbrr_C2R_dirReg
                                        ; -- End function
	.section	.AMDGPU.csdata,"",@progbits
; Kernel info:
; codeLenInByte = 28340
; NumSgprs: 29
; NumVgprs: 250
; ScratchSize: 0
; MemoryBound: 0
; FloatMode: 240
; IeeeMode: 1
; LDSByteSize: 0 bytes/workgroup (compile time only)
; SGPRBlocks: 3
; VGPRBlocks: 31
; NumSGPRsForWavesPerEU: 29
; NumVGPRsForWavesPerEU: 250
; Occupancy: 4
; WaveLimiterHint : 1
; COMPUTE_PGM_RSRC2:SCRATCH_EN: 0
; COMPUTE_PGM_RSRC2:USER_SGPR: 6
; COMPUTE_PGM_RSRC2:TRAP_HANDLER: 0
; COMPUTE_PGM_RSRC2:TGID_X_EN: 1
; COMPUTE_PGM_RSRC2:TGID_Y_EN: 0
; COMPUTE_PGM_RSRC2:TGID_Z_EN: 0
; COMPUTE_PGM_RSRC2:TIDIG_COMP_CNT: 0
	.text
	.p2alignl 6, 3214868480
	.fill 48, 4, 3214868480
	.type	__hip_cuid_e1c32b65bc8df8a8,@object ; @__hip_cuid_e1c32b65bc8df8a8
	.section	.bss,"aw",@nobits
	.globl	__hip_cuid_e1c32b65bc8df8a8
__hip_cuid_e1c32b65bc8df8a8:
	.byte	0                               ; 0x0
	.size	__hip_cuid_e1c32b65bc8df8a8, 1

	.ident	"AMD clang version 19.0.0git (https://github.com/RadeonOpenCompute/llvm-project roc-6.4.0 25133 c7fe45cf4b819c5991fe208aaa96edf142730f1d)"
	.section	".note.GNU-stack","",@progbits
	.addrsig
	.addrsig_sym __hip_cuid_e1c32b65bc8df8a8
	.amdgpu_metadata
---
amdhsa.kernels:
  - .args:
      - .actual_access:  read_only
        .address_space:  global
        .offset:         0
        .size:           8
        .value_kind:     global_buffer
      - .offset:         8
        .size:           8
        .value_kind:     by_value
      - .actual_access:  read_only
        .address_space:  global
        .offset:         16
        .size:           8
        .value_kind:     global_buffer
      - .actual_access:  read_only
        .address_space:  global
        .offset:         24
        .size:           8
        .value_kind:     global_buffer
      - .actual_access:  read_only
        .address_space:  global
        .offset:         32
        .size:           8
        .value_kind:     global_buffer
      - .offset:         40
        .size:           8
        .value_kind:     by_value
      - .actual_access:  read_only
        .address_space:  global
        .offset:         48
        .size:           8
        .value_kind:     global_buffer
      - .actual_access:  read_only
        .address_space:  global
        .offset:         56
        .size:           8
        .value_kind:     global_buffer
      - .offset:         64
        .size:           4
        .value_kind:     by_value
      - .actual_access:  read_only
        .address_space:  global
        .offset:         72
        .size:           8
        .value_kind:     global_buffer
      - .actual_access:  read_only
        .address_space:  global
        .offset:         80
        .size:           8
        .value_kind:     global_buffer
      - .actual_access:  read_only
        .address_space:  global
        .offset:         88
        .size:           8
        .value_kind:     global_buffer
      - .actual_access:  write_only
        .address_space:  global
        .offset:         96
        .size:           8
        .value_kind:     global_buffer
    .group_segment_fixed_size: 0
    .kernarg_segment_align: 8
    .kernarg_segment_size: 104
    .language:       OpenCL C
    .language_version:
      - 2
      - 0
    .max_flat_workgroup_size: 125
    .name:           fft_rtc_back_len3750_factors_3_5_5_10_5_wgs_125_tpt_125_halfLds_dp_op_CI_CI_unitstride_sbrr_C2R_dirReg
    .private_segment_fixed_size: 0
    .sgpr_count:     29
    .sgpr_spill_count: 0
    .symbol:         fft_rtc_back_len3750_factors_3_5_5_10_5_wgs_125_tpt_125_halfLds_dp_op_CI_CI_unitstride_sbrr_C2R_dirReg.kd
    .uniform_work_group_size: 1
    .uses_dynamic_stack: false
    .vgpr_count:     250
    .vgpr_spill_count: 0
    .wavefront_size: 32
    .workgroup_processor_mode: 1
amdhsa.target:   amdgcn-amd-amdhsa--gfx1030
amdhsa.version:
  - 1
  - 2
...

	.end_amdgpu_metadata
